;; amdgpu-corpus repo=ROCm/rocFFT kind=compiled arch=gfx906 opt=O3
	.text
	.amdgcn_target "amdgcn-amd-amdhsa--gfx906"
	.amdhsa_code_object_version 6
	.protected	bluestein_single_back_len3200_dim1_dp_op_CI_CI ; -- Begin function bluestein_single_back_len3200_dim1_dp_op_CI_CI
	.globl	bluestein_single_back_len3200_dim1_dp_op_CI_CI
	.p2align	8
	.type	bluestein_single_back_len3200_dim1_dp_op_CI_CI,@function
bluestein_single_back_len3200_dim1_dp_op_CI_CI: ; @bluestein_single_back_len3200_dim1_dp_op_CI_CI
; %bb.0:
	s_mov_b64 s[42:43], s[2:3]
	s_mov_b64 s[40:41], s[0:1]
	s_load_dwordx4 s[0:3], s[4:5], 0x28
	v_mul_u32_u24_e32 v1, 0x19a, v0
	v_add_u32_sdwa v2, s6, v1 dst_sel:DWORD dst_unused:UNUSED_PAD src0_sel:DWORD src1_sel:WORD_1
	v_mov_b32_e32 v3, 0
	s_add_u32 s40, s40, s7
	s_waitcnt lgkmcnt(0)
	v_cmp_gt_u64_e32 vcc, s[0:1], v[2:3]
	s_addc_u32 s41, s41, 0
	s_and_saveexec_b64 s[0:1], vcc
	s_cbranch_execz .LBB0_2
; %bb.1:
	s_load_dwordx4 s[12:15], s[4:5], 0x18
	s_load_dwordx4 s[8:11], s[4:5], 0x0
	v_mov_b32_e32 v4, v2
	s_movk_i32 s6, 0xa0
	v_mul_lo_u16_sdwa v1, v1, s6 dst_sel:DWORD dst_unused:UNUSED_PAD src0_sel:WORD_1 src1_sel:DWORD
	s_waitcnt lgkmcnt(0)
	s_load_dwordx4 s[16:19], s[12:13], 0x0
	buffer_store_dword v4, off, s[40:43], 0 offset:328 ; 4-byte Folded Spill
	s_nop 0
	buffer_store_dword v5, off, s[40:43], 0 offset:332 ; 4-byte Folded Spill
	v_sub_u16_e32 v141, v0, v1
	v_lshlrev_b32_e32 v114, 4, v141
	s_add_u32 s24, s8, 0xc800
	s_waitcnt lgkmcnt(0)
	v_mad_u64_u32 v[0:1], s[0:1], s18, v2, 0
	v_mad_u64_u32 v[2:3], s[0:1], s16, v141, 0
	s_mul_hi_u32 s7, s16, 0x1400
	s_addc_u32 s25, s9, 0
	s_mul_i32 s12, s16, 0x1400
	s_movk_i32 s26, 0x1000
	global_load_dwordx4 v[39:42], v114, s[8:9]
	s_movk_i32 s27, 0x2000
	s_movk_i32 s28, 0x3000
	;; [unrolled: 1-line block ×3, first 2 shown]
	v_mov_b32_e32 v24, 0x2800
	s_movk_i32 s30, 0x7000
	v_mov_b32_e32 v43, 0x2800
	s_mov_b32 s31, 0x8000
	s_mov_b32 s33, 0xb000
	s_movk_i32 s34, 0x4000
	s_movk_i32 s35, 0x5000
	s_mov_b32 s36, 0x9000
	s_mov_b32 s37, 0xa000
	;; [unrolled: 1-line block ×6, first 2 shown]
	s_movk_i32 s38, 0xcd
	s_load_dwordx2 s[4:5], s[4:5], 0x38
	v_mad_u64_u32 v[4:5], s[0:1], s19, v4, v[1:2]
	s_mov_b32 s19, 0xbfe9e377
	v_mad_u64_u32 v[5:6], s[0:1], s17, v141, v[3:4]
	v_mov_b32_e32 v1, v4
	v_lshlrev_b64 v[0:1], 4, v[0:1]
	v_mov_b32_e32 v3, v5
	v_add_co_u32_e32 v37, vcc, s2, v0
	v_mov_b32_e32 v0, s3
	v_addc_co_u32_e32 v38, vcc, v0, v1, vcc
	v_lshlrev_b64 v[0:1], 4, v[2:3]
	v_mov_b32_e32 v2, s9
	v_add_co_u32_e32 v0, vcc, v37, v0
	v_addc_co_u32_e32 v1, vcc, v38, v1, vcc
	v_add_co_u32_e32 v52, vcc, s8, v114
	s_mul_i32 s0, s17, 0x1400
	v_addc_co_u32_e32 v53, vcc, 0, v2, vcc
	s_add_i32 s7, s7, s0
	global_load_dwordx4 v[16:19], v[0:1], off
	v_add_co_u32_e32 v3, vcc, s12, v0
	v_mov_b32_e32 v0, s7
	v_addc_co_u32_e32 v4, vcc, v1, v0, vcc
	v_add_co_u32_e32 v48, vcc, s26, v52
	v_addc_co_u32_e32 v49, vcc, 0, v53, vcc
	global_load_dwordx4 v[54:57], v[48:49], off offset:1024
	global_load_dwordx4 v[20:23], v[3:4], off
	v_or_b32_e32 v2, 0x500, v141
	v_lshlrev_b32_e32 v0, 4, v2
	buffer_store_dword v0, off, s[40:43], 0 offset:336 ; 4-byte Folded Spill
	global_load_dwordx4 v[88:91], v0, s[8:9]
	v_add_co_u32_e32 v0, vcc, s27, v52
	v_add_co_u32_e64 v62, s[0:1], s28, v52
	v_addc_co_u32_e32 v1, vcc, 0, v53, vcc
	v_addc_co_u32_e64 v63, vcc, 0, v53, s[0:1]
	v_mad_u64_u32 v[5:6], s[0:1], s16, v2, 0
	buffer_store_dword v2, off, s[40:43], 0 offset:20 ; 4-byte Folded Spill
	v_add_co_u32_e64 v46, s[2:3], s29, v52
	v_addc_co_u32_e64 v47, vcc, 0, v53, s[2:3]
	global_load_dwordx4 v[127:130], v[0:1], off offset:2048
	global_load_dwordx4 v[100:103], v[62:63], off offset:3072
	;; [unrolled: 1-line block ×3, first 2 shown]
	v_mov_b32_e32 v0, v6
	v_mad_u64_u32 v[0:1], s[0:1], s17, v2, v[0:1]
	v_mov_b32_e32 v7, s7
	v_mov_b32_e32 v11, s7
	;; [unrolled: 1-line block ×3, first 2 shown]
	v_lshlrev_b64 v[0:1], 4, v[5:6]
	s_mul_i32 s2, s17, 0x2800
	v_add_co_u32_e32 v0, vcc, v37, v0
	v_addc_co_u32_e32 v1, vcc, v38, v1, vcc
	v_add_co_u32_e32 v8, vcc, s12, v3
	global_load_dwordx4 v[0:3], v[0:1], off
	s_waitcnt vmcnt(10)
	buffer_store_dword v39, off, s[40:43], 0 offset:56 ; 4-byte Folded Spill
	s_nop 0
	buffer_store_dword v40, off, s[40:43], 0 offset:60 ; 4-byte Folded Spill
	buffer_store_dword v41, off, s[40:43], 0 offset:64 ; 4-byte Folded Spill
	;; [unrolled: 1-line block ×3, first 2 shown]
	v_addc_co_u32_e32 v9, vcc, v4, v7, vcc
	v_add_co_u32_e32 v10, vcc, s12, v8
	v_addc_co_u32_e32 v11, vcc, v9, v11, vcc
	v_mad_u64_u32 v[32:33], s[0:1], s16, v24, v[10:11]
	s_waitcnt vmcnt(12)
	buffer_store_dword v54, off, s[40:43], 0 offset:40 ; 4-byte Folded Spill
	s_nop 0
	buffer_store_dword v55, off, s[40:43], 0 offset:44 ; 4-byte Folded Spill
	buffer_store_dword v56, off, s[40:43], 0 offset:48 ; 4-byte Folded Spill
	;; [unrolled: 1-line block ×3, first 2 shown]
	v_add_u32_e32 v33, s2, v33
	global_load_dwordx4 v[12:15], v[8:9], off
	global_load_dwordx4 v[4:7], v[10:11], off
	s_waitcnt vmcnt(12)
	v_mov_b32_e32 v126, v103
	global_load_dwordx4 v[8:11], v[32:33], off
	v_mov_b32_e32 v125, v102
	v_mov_b32_e32 v124, v101
	;; [unrolled: 1-line block ×7, first 2 shown]
	s_waitcnt vmcnt(12)
	v_mov_b32_e32 v91, v87
	v_mov_b32_e32 v90, v86
	;; [unrolled: 1-line block ×4, first 2 shown]
	v_mul_f64 v[24:25], v[18:19], v[41:42]
	v_mul_f64 v[26:27], v[16:17], v[41:42]
	v_mov_b32_e32 v42, 0xffff5600
	v_fma_f64 v[24:25], v[16:17], v[39:40], v[24:25]
	v_mov_b32_e32 v16, s7
	v_fma_f64 v[26:27], v[18:19], v[39:40], -v[26:27]
	v_or_b32_e32 v39, 0xa00, v141
	v_mad_u64_u32 v[34:35], s[0:1], s16, v39, 0
	buffer_store_dword v39, off, s[40:43], 0 offset:16 ; 4-byte Folded Spill
	v_mad_u64_u32 v[35:36], s[0:1], s17, v39, v[35:36]
	v_lshlrev_b32_e32 v36, 4, v39
	buffer_store_dword v36, off, s[40:43], 0 offset:340 ; 4-byte Folded Spill
	v_lshlrev_b64 v[34:35], 4, v[34:35]
	global_load_dwordx4 v[119:122], v36, s[8:9]
	v_mul_f64 v[28:29], v[22:23], v[56:57]
	v_mul_f64 v[30:31], v[20:21], v[56:57]
	v_fma_f64 v[28:29], v[20:21], v[54:55], v[28:29]
	v_add_co_u32_e32 v20, vcc, s12, v32
	v_addc_co_u32_e32 v21, vcc, v33, v16, vcc
	v_fma_f64 v[30:31], v[22:23], v[54:55], -v[30:31]
	v_add_co_u32_e32 v22, vcc, s30, v52
	v_addc_co_u32_e32 v23, vcc, 0, v53, vcc
	global_load_dwordx4 v[16:19], v[20:21], off
	v_add_co_u32_e32 v32, vcc, s12, v20
	v_mov_b32_e32 v20, s7
	v_addc_co_u32_e32 v33, vcc, v21, v20, vcc
	v_mad_u64_u32 v[40:41], s[0:1], s16, v43, v[32:33]
	v_add_co_u32_e32 v50, vcc, s31, v52
	v_add_u32_e32 v41, s2, v41
	v_addc_co_u32_e32 v51, vcc, 0, v53, vcc
	v_mad_u64_u32 v[54:55], s[0:1], s16, v42, v[40:41]
	v_add_co_u32_e32 v34, vcc, v37, v34
	v_addc_co_u32_e32 v35, vcc, v38, v35, vcc
	s_mul_i32 s0, s17, 0xffff5600
	v_add_co_u32_e32 v44, vcc, s33, v52
	s_sub_i32 s0, s0, s16
	v_addc_co_u32_e32 v45, vcc, 0, v53, vcc
	v_add_u32_e32 v55, s0, v55
	global_load_dwordx4 v[108:111], v[22:23], off offset:2048
	global_load_dwordx4 v[115:118], v[50:51], off offset:3072
	;; [unrolled: 1-line block ×3, first 2 shown]
	global_load_dwordx4 v[36:39], v[40:41], off
	v_add_co_u32_e32 v58, vcc, s12, v54
	global_load_dwordx4 v[20:23], v[32:33], off
	s_mov_b32 s17, 0xbfe2cf23
	global_load_dwordx4 v[32:35], v[34:35], off
	s_nop 0
	global_load_dwordx4 v[40:43], v[54:55], off
	global_load_dwordx4 v[131:134], v114, s[8:9] offset:2560
	v_mov_b32_e32 v54, s7
	v_addc_co_u32_e32 v59, vcc, v55, v54, vcc
	global_load_dwordx4 v[54:57], v[58:59], off
	global_load_dwordx4 v[135:138], v[48:49], off offset:3584
	v_add_co_u32_e32 v48, vcc, s12, v58
	v_mov_b32_e32 v49, s7
	v_addc_co_u32_e32 v49, vcc, v59, v49, vcc
	global_load_dwordx4 v[58:61], v[48:49], off
	global_load_dwordx4 v[142:145], v[62:63], off offset:512
	v_add_co_u32_e32 v48, vcc, s12, v48
	v_mov_b32_e32 v62, s7
	v_addc_co_u32_e32 v49, vcc, v49, v62, vcc
	v_add_co_u32_e32 v66, vcc, s34, v52
	v_addc_co_u32_e32 v67, vcc, 0, v53, vcc
	global_load_dwordx4 v[62:65], v[48:49], off
	global_load_dwordx4 v[146:149], v[66:67], off offset:1536
	v_add_co_u32_e32 v48, vcc, s12, v48
	v_mov_b32_e32 v66, s7
	v_addc_co_u32_e32 v49, vcc, v49, v66, vcc
	v_add_co_u32_e32 v70, vcc, s35, v52
	v_addc_co_u32_e32 v71, vcc, 0, v53, vcc
	global_load_dwordx4 v[66:69], v[48:49], off
	global_load_dwordx4 v[150:153], v[70:71], off offset:2560
	v_add_co_u32_e32 v48, vcc, s12, v48
	v_mov_b32_e32 v70, s7
	v_addc_co_u32_e32 v49, vcc, v49, v70, vcc
	global_load_dwordx4 v[70:73], v[48:49], off
	global_load_dwordx4 v[154:157], v[46:47], off offset:3584
	v_add_co_u32_e32 v74, vcc, s12, v48
	v_mov_b32_e32 v46, s7
	;; [unrolled: 5-line block ×3, first 2 shown]
	v_addc_co_u32_e32 v51, vcc, v75, v51, vcc
	v_add_co_u32_e32 v78, vcc, s36, v52
	v_addc_co_u32_e32 v79, vcc, 0, v53, vcc
	global_load_dwordx4 v[74:77], v[50:51], off
	global_load_dwordx4 v[162:165], v[78:79], off offset:1536
	v_add_co_u32_e32 v50, vcc, s12, v50
	v_mov_b32_e32 v78, s7
	v_addc_co_u32_e32 v51, vcc, v51, v78, vcc
	v_add_co_u32_e32 v52, vcc, s37, v52
	v_addc_co_u32_e32 v53, vcc, 0, v53, vcc
	global_load_dwordx4 v[78:81], v[50:51], off
	global_load_dwordx4 v[96:99], v[52:53], off offset:2560
	v_add_co_u32_e32 v50, vcc, s12, v50
	v_mov_b32_e32 v52, s7
	v_addc_co_u32_e32 v51, vcc, v51, v52, vcc
	global_load_dwordx4 v[50:53], v[50:51], off
	s_nop 0
	global_load_dwordx4 v[92:95], v[44:45], off offset:3584
	s_load_dwordx4 s[0:3], s[14:15], 0x0
	ds_write_b128 v114, v[24:27]
	ds_write_b128 v114, v[28:31] offset:5120
	buffer_store_dword v127, off, s[40:43], 0 offset:312 ; 4-byte Folded Spill
	s_nop 0
	buffer_store_dword v128, off, s[40:43], 0 offset:316 ; 4-byte Folded Spill
	buffer_store_dword v129, off, s[40:43], 0 offset:320 ; 4-byte Folded Spill
	buffer_store_dword v130, off, s[40:43], 0 offset:324 ; 4-byte Folded Spill
	buffer_store_dword v123, off, s[40:43], 0 offset:296 ; 4-byte Folded Spill
	s_nop 0
	buffer_store_dword v124, off, s[40:43], 0 offset:300 ; 4-byte Folded Spill
	buffer_store_dword v125, off, s[40:43], 0 offset:304 ; 4-byte Folded Spill
	buffer_store_dword v126, off, s[40:43], 0 offset:308 ; 4-byte Folded Spill
	;; [unrolled: 5-line block ×4, first 2 shown]
	s_waitcnt vmcnt(41)
	buffer_store_dword v108, off, s[40:43], 0 offset:248 ; 4-byte Folded Spill
	s_nop 0
	buffer_store_dword v109, off, s[40:43], 0 offset:252 ; 4-byte Folded Spill
	buffer_store_dword v110, off, s[40:43], 0 offset:256 ; 4-byte Folded Spill
	;; [unrolled: 1-line block ×3, first 2 shown]
	s_waitcnt vmcnt(44)
	buffer_store_dword v115, off, s[40:43], 0 offset:232 ; 4-byte Folded Spill
	s_nop 0
	buffer_store_dword v116, off, s[40:43], 0 offset:236 ; 4-byte Folded Spill
	buffer_store_dword v117, off, s[40:43], 0 offset:240 ; 4-byte Folded Spill
	;; [unrolled: 1-line block ×3, first 2 shown]
	s_mov_b32 s15, 0xbfee6f0e
	s_mov_b32 s8, 0x4755a5e
	;; [unrolled: 1-line block ×7, first 2 shown]
	v_mul_f64 v[24:25], v[14:15], v[129:130]
	v_mul_f64 v[26:27], v[12:13], v[129:130]
	v_mul_f64 v[28:29], v[6:7], v[125:126]
	v_mul_f64 v[30:31], v[4:5], v[125:126]
	v_mul_f64 v[44:45], v[2:3], v[102:103]
	v_mul_f64 v[82:83], v[0:1], v[102:103]
	v_mul_f64 v[84:85], v[10:11], v[90:91]
	v_mul_f64 v[86:87], v[8:9], v[90:91]
	v_fma_f64 v[12:13], v[12:13], v[127:128], v[24:25]
	v_fma_f64 v[14:15], v[14:15], v[127:128], -v[26:27]
	v_fma_f64 v[4:5], v[4:5], v[123:124], v[28:29]
	v_fma_f64 v[6:7], v[6:7], v[123:124], -v[30:31]
	;; [unrolled: 2-line block ×4, first 2 shown]
	ds_write_b128 v114, v[12:15] offset:10240
	ds_write_b128 v114, v[4:7] offset:15360
	;; [unrolled: 1-line block ×4, first 2 shown]
	buffer_store_dword v119, off, s[40:43], 0 offset:216 ; 4-byte Folded Spill
	s_nop 0
	buffer_store_dword v120, off, s[40:43], 0 offset:220 ; 4-byte Folded Spill
	buffer_store_dword v121, off, s[40:43], 0 offset:224 ; 4-byte Folded Spill
	buffer_store_dword v122, off, s[40:43], 0 offset:228 ; 4-byte Folded Spill
	s_waitcnt vmcnt(51)
	buffer_store_dword v104, off, s[40:43], 0 offset:200 ; 4-byte Folded Spill
	s_nop 0
	buffer_store_dword v105, off, s[40:43], 0 offset:204 ; 4-byte Folded Spill
	buffer_store_dword v106, off, s[40:43], 0 offset:208 ; 4-byte Folded Spill
	buffer_store_dword v107, off, s[40:43], 0 offset:212 ; 4-byte Folded Spill
	s_waitcnt vmcnt(50)
	;; [unrolled: 6-line block ×3, first 2 shown]
	buffer_store_dword v135, off, s[40:43], 0 offset:136 ; 4-byte Folded Spill
	s_nop 0
	buffer_store_dword v136, off, s[40:43], 0 offset:140 ; 4-byte Folded Spill
	buffer_store_dword v137, off, s[40:43], 0 offset:144 ; 4-byte Folded Spill
	;; [unrolled: 1-line block ×3, first 2 shown]
	v_mul_f64 v[24:25], v[18:19], v[110:111]
	v_mul_f64 v[26:27], v[16:17], v[110:111]
	;; [unrolled: 1-line block ×4, first 2 shown]
	v_add_co_u32_e32 v91, vcc, s6, v141
	s_mov_b32 s6, 0x134454ff
	s_mov_b32 s7, 0x3fee6f0e
	v_fma_f64 v[0:1], v[16:17], v[108:109], v[24:25]
	v_fma_f64 v[2:3], v[18:19], v[108:109], -v[26:27]
	v_fma_f64 v[4:5], v[20:21], v[115:116], v[28:29]
	v_fma_f64 v[6:7], v[22:23], v[115:116], -v[30:31]
	s_waitcnt vmcnt(42)
	v_mul_f64 v[24:25], v[80:81], v[98:99]
	v_mul_f64 v[26:27], v[78:79], v[98:99]
	s_mov_b32 s14, s6
	v_mov_b32_e32 v90, s11
	v_mul_f64 v[8:9], v[34:35], v[121:122]
	v_mul_f64 v[10:11], v[32:33], v[121:122]
	;; [unrolled: 1-line block ×8, first 2 shown]
	v_fma_f64 v[8:9], v[32:33], v[119:120], v[8:9]
	v_fma_f64 v[10:11], v[34:35], v[119:120], -v[10:11]
	v_fma_f64 v[16:17], v[40:41], v[131:132], v[16:17]
	v_fma_f64 v[18:19], v[42:43], v[131:132], -v[18:19]
	;; [unrolled: 2-line block ×4, first 2 shown]
	ds_write_b128 v114, v[0:3] offset:30720
	ds_write_b128 v114, v[4:7] offset:35840
	;; [unrolled: 1-line block ×6, first 2 shown]
	buffer_store_dword v142, off, s[40:43], 0 offset:120 ; 4-byte Folded Spill
	s_nop 0
	buffer_store_dword v143, off, s[40:43], 0 offset:124 ; 4-byte Folded Spill
	buffer_store_dword v144, off, s[40:43], 0 offset:128 ; 4-byte Folded Spill
	buffer_store_dword v145, off, s[40:43], 0 offset:132 ; 4-byte Folded Spill
	buffer_store_dword v146, off, s[40:43], 0 offset:104 ; 4-byte Folded Spill
	s_nop 0
	buffer_store_dword v147, off, s[40:43], 0 offset:108 ; 4-byte Folded Spill
	buffer_store_dword v148, off, s[40:43], 0 offset:112 ; 4-byte Folded Spill
	buffer_store_dword v149, off, s[40:43], 0 offset:116 ; 4-byte Folded Spill
	;; [unrolled: 5-line block ×4, first 2 shown]
	s_waitcnt vmcnt(56)
	buffer_store_dword v92, off, s[40:43], 0 ; 4-byte Folded Spill
	s_nop 0
	buffer_store_dword v93, off, s[40:43], 0 offset:4 ; 4-byte Folded Spill
	buffer_store_dword v94, off, s[40:43], 0 offset:8 ; 4-byte Folded Spill
	;; [unrolled: 1-line block ×3, first 2 shown]
	v_mul_f64 v[16:17], v[48:49], v[160:161]
	v_mul_f64 v[18:19], v[46:47], v[160:161]
	buffer_store_dword v158, off, s[40:43], 0 offset:184 ; 4-byte Folded Spill
	s_nop 0
	buffer_store_dword v159, off, s[40:43], 0 offset:188 ; 4-byte Folded Spill
	buffer_store_dword v160, off, s[40:43], 0 offset:192 ; 4-byte Folded Spill
	;; [unrolled: 1-line block ×3, first 2 shown]
	v_mul_f64 v[20:21], v[76:77], v[164:165]
	v_mul_f64 v[22:23], v[74:75], v[164:165]
	buffer_store_dword v162, off, s[40:43], 0 offset:152 ; 4-byte Folded Spill
	s_nop 0
	buffer_store_dword v163, off, s[40:43], 0 offset:156 ; 4-byte Folded Spill
	buffer_store_dword v164, off, s[40:43], 0 offset:160 ; 4-byte Folded Spill
	;; [unrolled: 1-line block ×4, first 2 shown]
	s_nop 0
	buffer_store_dword v97, off, s[40:43], 0 offset:28 ; 4-byte Folded Spill
	buffer_store_dword v98, off, s[40:43], 0 offset:32 ; 4-byte Folded Spill
	;; [unrolled: 1-line block ×3, first 2 shown]
	v_mul_f64 v[0:1], v[60:61], v[144:145]
	v_mul_f64 v[2:3], v[58:59], v[144:145]
	;; [unrolled: 1-line block ×10, first 2 shown]
	v_fma_f64 v[0:1], v[58:59], v[142:143], v[0:1]
	v_fma_f64 v[2:3], v[60:61], v[142:143], -v[2:3]
	v_fma_f64 v[4:5], v[62:63], v[146:147], v[4:5]
	v_fma_f64 v[6:7], v[64:65], v[146:147], -v[6:7]
	;; [unrolled: 2-line block ×8, first 2 shown]
	ds_write_b128 v114, v[0:3] offset:12800
	ds_write_b128 v114, v[4:7] offset:17920
	;; [unrolled: 1-line block ×8, first 2 shown]
	s_waitcnt vmcnt(0) lgkmcnt(0)
	s_barrier
	ds_read_b128 v[52:55], v114
	ds_read_b128 v[40:43], v114 offset:5120
	ds_read_b128 v[56:59], v114 offset:10240
	ds_read_b128 v[60:63], v114 offset:20480
	ds_read_b128 v[64:67], v114 offset:30720
	ds_read_b128 v[44:47], v114 offset:15360
	ds_read_b128 v[48:51], v114 offset:25600
	ds_read_b128 v[68:71], v114 offset:35840
	ds_read_b128 v[72:75], v114 offset:40960
	ds_read_b128 v[76:79], v114 offset:46080
	ds_read_b128 v[32:35], v114 offset:2560
	ds_read_b128 v[12:15], v114 offset:7680
	ds_read_b128 v[20:23], v114 offset:12800
	s_waitcnt lgkmcnt(8)
	v_add_f64 v[2:3], v[60:61], v[64:65]
	s_waitcnt lgkmcnt(4)
	v_add_f64 v[92:93], v[56:57], v[72:73]
	v_add_f64 v[0:1], v[52:53], v[56:57]
	v_add_f64 v[82:83], v[58:59], -v[74:75]
	v_add_f64 v[88:89], v[62:63], -v[66:67]
	;; [unrolled: 1-line block ×5, first 2 shown]
	v_fma_f64 v[80:81], v[2:3], -0.5, v[52:53]
	v_fma_f64 v[52:53], v[92:93], -0.5, v[52:53]
	v_add_f64 v[16:17], v[0:1], v[60:61]
	v_add_f64 v[100:101], v[54:55], v[58:59]
	;; [unrolled: 1-line block ×3, first 2 shown]
	s_waitcnt lgkmcnt(3)
	v_add_f64 v[104:105], v[76:77], -v[68:69]
	v_add_f64 v[92:93], v[94:95], v[96:97]
	v_add_f64 v[96:97], v[60:61], -v[56:57]
	v_fma_f64 v[86:87], v[82:83], s[6:7], v[80:81]
	v_fma_f64 v[80:81], v[82:83], s[14:15], v[80:81]
	;; [unrolled: 1-line block ×4, first 2 shown]
	v_add_f64 v[84:85], v[16:17], v[64:65]
	v_add_f64 v[56:57], v[56:57], -v[72:73]
	v_add_f64 v[60:61], v[60:61], -v[64:65]
	ds_read_b128 v[4:7], v114 offset:17920
	v_fma_f64 v[86:87], v[88:89], s[8:9], v[86:87]
	v_fma_f64 v[80:81], v[88:89], s[16:17], v[80:81]
	;; [unrolled: 1-line block ×3, first 2 shown]
	v_add_f64 v[94:95], v[96:97], v[98:99]
	v_add_f64 v[96:97], v[100:101], v[62:63]
	;; [unrolled: 1-line block ×3, first 2 shown]
	v_fma_f64 v[100:101], v[102:103], -0.5, v[54:55]
	v_fma_f64 v[52:53], v[82:83], s[16:17], v[52:53]
	v_add_f64 v[84:85], v[84:85], v[72:73]
	v_fma_f64 v[82:83], v[92:93], s[12:13], v[86:87]
	v_fma_f64 v[80:81], v[92:93], s[12:13], v[80:81]
	;; [unrolled: 1-line block ×3, first 2 shown]
	v_add_f64 v[64:65], v[96:97], v[66:67]
	v_fma_f64 v[54:55], v[98:99], -0.5, v[54:55]
	v_fma_f64 v[72:73], v[56:57], s[14:15], v[100:101]
	v_fma_f64 v[88:89], v[94:95], s[12:13], v[52:53]
	v_add_f64 v[52:53], v[48:49], v[68:69]
	v_add_f64 v[92:93], v[58:59], -v[62:63]
	v_add_f64 v[94:95], v[74:75], -v[66:67]
	v_fma_f64 v[96:97], v[56:57], s[6:7], v[100:101]
	v_add_f64 v[100:101], v[64:65], v[74:75]
	v_fma_f64 v[98:99], v[60:61], s[6:7], v[54:55]
	v_fma_f64 v[64:65], v[60:61], s[16:17], v[72:73]
	v_add_f64 v[72:73], v[40:41], v[44:45]
	v_fma_f64 v[52:53], v[52:53], -0.5, v[40:41]
	v_add_f64 v[102:103], v[46:47], -v[78:79]
	v_add_f64 v[58:59], v[62:63], -v[58:59]
	;; [unrolled: 1-line block ×3, first 2 shown]
	v_fma_f64 v[54:55], v[60:61], s[14:15], v[54:55]
	v_add_f64 v[92:93], v[92:93], v[94:95]
	v_fma_f64 v[94:95], v[60:61], s[8:9], v[96:97]
	v_fma_f64 v[96:97], v[56:57], s[16:17], v[98:99]
	v_add_f64 v[60:61], v[72:73], v[48:49]
	v_fma_f64 v[66:67], v[102:103], s[6:7], v[52:53]
	v_add_f64 v[72:73], v[50:51], -v[70:71]
	v_add_f64 v[74:75], v[44:45], -v[48:49]
	v_add_f64 v[98:99], v[44:45], v[76:77]
	v_add_f64 v[58:59], v[58:59], v[62:63]
	v_fma_f64 v[54:55], v[56:57], s[8:9], v[54:55]
	v_fma_f64 v[62:63], v[92:93], s[12:13], v[64:65]
	v_add_f64 v[56:57], v[60:61], v[68:69]
	v_fma_f64 v[92:93], v[92:93], s[12:13], v[94:95]
	v_fma_f64 v[60:61], v[72:73], s[8:9], v[66:67]
	v_add_f64 v[64:65], v[74:75], v[104:105]
	v_fma_f64 v[40:41], v[98:99], -0.5, v[40:41]
	v_fma_f64 v[94:95], v[58:59], s[12:13], v[96:97]
	v_add_f64 v[66:67], v[50:51], v[70:71]
	v_fma_f64 v[96:97], v[58:59], s[12:13], v[54:55]
	v_add_f64 v[54:55], v[46:47], v[78:79]
	v_add_f64 v[74:75], v[56:57], v[76:77]
	v_fma_f64 v[52:53], v[102:103], s[14:15], v[52:53]
	v_fma_f64 v[58:59], v[64:65], s[12:13], v[60:61]
	;; [unrolled: 1-line block ×3, first 2 shown]
	v_add_f64 v[60:61], v[42:43], v[46:47]
	v_fma_f64 v[66:67], v[66:67], -0.5, v[42:43]
	v_add_f64 v[104:105], v[48:49], -v[68:69]
	v_fma_f64 v[42:43], v[54:55], -0.5, v[42:43]
	v_add_f64 v[98:99], v[44:45], -v[76:77]
	v_fma_f64 v[52:53], v[72:73], s[16:17], v[52:53]
	v_add_f64 v[44:45], v[48:49], -v[44:45]
	v_fma_f64 v[54:55], v[102:103], s[8:9], v[56:57]
	;; [unrolled: 2-line block ×3, first 2 shown]
	v_add_f64 v[56:57], v[60:61], v[50:51]
	v_fma_f64 v[68:69], v[104:105], s[6:7], v[42:43]
	v_add_f64 v[72:73], v[50:51], -v[46:47]
	v_add_f64 v[76:77], v[70:71], -v[78:79]
	;; [unrolled: 1-line block ×4, first 2 shown]
	v_add_f64 v[44:45], v[44:45], v[48:49]
	v_fma_f64 v[42:43], v[104:105], s[14:15], v[42:43]
	v_fma_f64 v[40:41], v[102:103], s[16:17], v[40:41]
	v_add_f64 v[48:49], v[56:57], v[70:71]
	v_fma_f64 v[56:57], v[98:99], s[16:17], v[68:69]
	v_add_f64 v[68:69], v[72:73], v[76:77]
	;; [unrolled: 2-line block ×3, first 2 shown]
	v_fma_f64 v[50:51], v[98:99], s[6:7], v[66:67]
	v_fma_f64 v[42:43], v[98:99], s[8:9], v[42:43]
	;; [unrolled: 1-line block ×7, first 2 shown]
	v_add_f64 v[70:71], v[48:49], v[78:79]
	v_fma_f64 v[40:41], v[104:105], s[8:9], v[50:51]
	v_fma_f64 v[42:43], v[68:69], s[12:13], v[42:43]
	v_mul_f64 v[44:45], v[58:59], s[22:23]
	v_mul_f64 v[50:51], v[64:65], s[20:21]
	ds_read_b128 v[24:27], v114 offset:23040
	ds_read_b128 v[8:11], v114 offset:28160
	;; [unrolled: 1-line block ×4, first 2 shown]
	v_mul_f64 v[48:49], v[66:67], s[6:7]
	v_fma_f64 v[60:61], v[46:47], s[12:13], v[60:61]
	v_mul_f64 v[56:57], v[52:53], s[18:19]
	v_fma_f64 v[46:47], v[46:47], s[12:13], v[40:41]
	ds_read_b128 v[36:39], v114 offset:43520
	ds_read_b128 v[16:19], v114 offset:48640
	v_add_f64 v[40:41], v[84:85], v[74:75]
	v_fma_f64 v[78:79], v[42:43], s[6:7], v[50:51]
	v_mul_f64 v[50:51], v[58:59], s[16:17]
	v_fma_f64 v[76:77], v[54:55], s[12:13], v[48:49]
	v_mul_f64 v[54:55], v[54:55], s[14:15]
	;; [unrolled: 2-line block ×3, first 2 shown]
	v_mul_f64 v[58:59], v[46:47], s[18:19]
	v_fma_f64 v[98:99], v[46:47], s[8:9], v[56:57]
	v_add_f64 v[72:73], v[84:85], -v[74:75]
	v_fma_f64 v[102:103], v[60:61], s[22:23], v[50:51]
	s_waitcnt lgkmcnt(7)
	v_add_f64 v[60:61], v[32:33], v[20:21]
	v_fma_f64 v[104:105], v[66:67], s[12:13], v[54:55]
	s_waitcnt lgkmcnt(3)
	v_add_f64 v[66:67], v[24:25], v[28:29]
	v_add_f64 v[56:57], v[82:83], v[68:69]
	v_fma_f64 v[106:107], v[64:65], s[14:15], v[42:43]
	v_add_f64 v[64:65], v[82:83], -v[68:69]
	s_waitcnt lgkmcnt(1)
	v_add_f64 v[110:111], v[22:23], -v[38:39]
	v_fma_f64 v[108:109], v[52:53], s[16:17], v[58:59]
	v_add_f64 v[82:83], v[60:61], v[24:25]
	v_add_f64 v[58:59], v[62:63], v[102:103]
	v_fma_f64 v[84:85], v[66:67], -0.5, v[32:33]
	v_add_f64 v[66:67], v[62:63], -v[102:103]
	v_add_f64 v[62:63], v[20:21], v[36:37]
	v_add_f64 v[48:49], v[86:87], v[76:77]
	;; [unrolled: 1-line block ×5, first 2 shown]
	v_add_f64 v[76:77], v[86:87], -v[76:77]
	v_add_f64 v[68:69], v[88:89], -v[78:79]
	;; [unrolled: 1-line block ×3, first 2 shown]
	v_add_f64 v[80:81], v[82:83], v[28:29]
	v_fma_f64 v[82:83], v[110:111], s[6:7], v[84:85]
	v_add_f64 v[86:87], v[26:27], -v[30:31]
	v_add_f64 v[78:79], v[94:95], -v[104:105]
	;; [unrolled: 1-line block ×4, first 2 shown]
	v_fma_f64 v[32:33], v[62:63], -0.5, v[32:33]
	v_add_f64 v[42:43], v[100:101], v[70:71]
	v_add_f64 v[46:47], v[96:97], v[106:107]
	;; [unrolled: 1-line block ×3, first 2 shown]
	v_add_f64 v[74:75], v[100:101], -v[70:71]
	v_add_f64 v[70:71], v[96:97], -v[106:107]
	;; [unrolled: 1-line block ×3, first 2 shown]
	v_fma_f64 v[82:83], v[86:87], s[8:9], v[82:83]
	v_add_f64 v[92:93], v[34:35], v[22:23]
	v_add_f64 v[96:97], v[26:27], v[30:31]
	;; [unrolled: 1-line block ×3, first 2 shown]
	v_fma_f64 v[84:85], v[110:111], s[14:15], v[84:85]
	v_fma_f64 v[94:95], v[86:87], s[14:15], v[32:33]
	v_add_f64 v[80:81], v[80:81], v[36:37]
	v_add_f64 v[98:99], v[24:25], -v[20:21]
	v_add_f64 v[100:101], v[28:29], -v[36:37]
	v_fma_f64 v[32:33], v[86:87], s[6:7], v[32:33]
	v_add_f64 v[92:93], v[92:93], v[26:27]
	v_fma_f64 v[96:97], v[96:97], -0.5, v[34:35]
	v_add_f64 v[20:21], v[20:21], -v[36:37]
	v_fma_f64 v[36:37], v[88:89], s[12:13], v[82:83]
	v_fma_f64 v[82:83], v[86:87], s[16:17], v[84:85]
	;; [unrolled: 1-line block ×3, first 2 shown]
	v_add_f64 v[94:95], v[22:23], v[38:39]
	v_add_f64 v[86:87], v[98:99], v[100:101]
	v_fma_f64 v[32:33], v[110:111], s[16:17], v[32:33]
	v_add_f64 v[92:93], v[92:93], v[30:31]
	v_fma_f64 v[98:99], v[20:21], s[14:15], v[96:97]
	v_add_f64 v[24:25], v[24:25], -v[28:29]
	v_fma_f64 v[82:83], v[88:89], s[12:13], v[82:83]
	v_add_f64 v[28:29], v[22:23], -v[26:27]
	v_add_f64 v[88:89], v[38:39], -v[30:31]
	v_fma_f64 v[34:35], v[94:95], -0.5, v[34:35]
	v_fma_f64 v[84:85], v[86:87], s[12:13], v[84:85]
	v_fma_f64 v[32:33], v[86:87], s[12:13], v[32:33]
	v_add_f64 v[86:87], v[92:93], v[38:39]
	v_fma_f64 v[92:93], v[24:25], s[16:17], v[98:99]
	v_add_f64 v[94:95], v[12:13], v[4:5]
	v_add_f64 v[98:99], v[8:9], v[0:1]
	;; [unrolled: 1-line block ×3, first 2 shown]
	v_fma_f64 v[88:89], v[20:21], s[6:7], v[96:97]
	v_fma_f64 v[96:97], v[24:25], s[6:7], v[34:35]
	v_add_f64 v[22:23], v[26:27], -v[22:23]
	v_add_f64 v[26:27], v[30:31], -v[38:39]
	v_fma_f64 v[30:31], v[24:25], s[14:15], v[34:35]
	v_add_f64 v[34:35], v[94:95], v[8:9]
	v_fma_f64 v[38:39], v[98:99], -0.5, v[12:13]
	s_waitcnt lgkmcnt(0)
	v_add_f64 v[94:95], v[6:7], -v[18:19]
	v_fma_f64 v[24:25], v[24:25], s[8:9], v[88:89]
	v_fma_f64 v[88:89], v[20:21], s[16:17], v[96:97]
	;; [unrolled: 1-line block ×3, first 2 shown]
	v_add_f64 v[22:23], v[22:23], v[26:27]
	v_fma_f64 v[20:21], v[20:21], s[8:9], v[30:31]
	v_add_f64 v[26:27], v[4:5], v[16:17]
	v_add_f64 v[30:31], v[34:35], v[0:1]
	v_fma_f64 v[34:35], v[94:95], s[6:7], v[38:39]
	v_add_f64 v[96:97], v[10:11], -v[2:3]
	v_add_f64 v[98:99], v[4:5], -v[8:9]
	;; [unrolled: 1-line block ×3, first 2 shown]
	v_fma_f64 v[102:103], v[28:29], s[12:13], v[24:25]
	v_add_f64 v[28:29], v[6:7], v[18:19]
	v_fma_f64 v[88:89], v[22:23], s[12:13], v[88:89]
	v_fma_f64 v[12:13], v[26:27], -0.5, v[12:13]
	v_fma_f64 v[104:105], v[22:23], s[12:13], v[20:21]
	v_add_f64 v[22:23], v[10:11], v[2:3]
	v_add_f64 v[20:21], v[30:31], v[16:17]
	v_fma_f64 v[24:25], v[96:97], s[8:9], v[34:35]
	v_add_f64 v[26:27], v[98:99], v[100:101]
	v_fma_f64 v[30:31], v[94:95], s[14:15], v[38:39]
	v_add_f64 v[38:39], v[8:9], -v[4:5]
	v_add_f64 v[98:99], v[0:1], -v[16:17]
	;; [unrolled: 1-line block ×3, first 2 shown]
	v_fma_f64 v[8:9], v[28:29], -0.5, v[14:15]
	v_fma_f64 v[34:35], v[96:97], s[14:15], v[12:13]
	v_fma_f64 v[22:23], v[22:23], -0.5, v[14:15]
	v_add_f64 v[4:5], v[4:5], -v[16:17]
	v_add_f64 v[14:15], v[14:15], v[6:7]
	v_fma_f64 v[16:17], v[26:27], s[12:13], v[24:25]
	v_fma_f64 v[24:25], v[96:97], s[16:17], v[30:31]
	v_add_f64 v[30:31], v[38:39], v[98:99]
	v_fma_f64 v[12:13], v[96:97], s[6:7], v[12:13]
	v_fma_f64 v[38:39], v[0:1], s[6:7], v[8:9]
	v_add_f64 v[96:97], v[10:11], -v[6:7]
	v_add_f64 v[98:99], v[2:3], -v[18:19]
	v_fma_f64 v[8:9], v[0:1], s[14:15], v[8:9]
	v_fma_f64 v[28:29], v[94:95], s[8:9], v[34:35]
	;; [unrolled: 1-line block ×3, first 2 shown]
	v_add_f64 v[6:7], v[6:7], -v[10:11]
	v_add_f64 v[100:101], v[18:19], -v[2:3]
	v_add_f64 v[10:11], v[14:15], v[10:11]
	v_fma_f64 v[14:15], v[4:5], s[6:7], v[22:23]
	v_fma_f64 v[22:23], v[4:5], s[16:17], v[38:39]
	v_add_f64 v[38:39], v[96:97], v[98:99]
	v_fma_f64 v[12:13], v[94:95], s[16:17], v[12:13]
	v_fma_f64 v[4:5], v[4:5], s[8:9], v[8:9]
	;; [unrolled: 1-line block ×3, first 2 shown]
	v_add_f64 v[6:7], v[6:7], v[100:101]
	v_add_f64 v[2:3], v[10:11], v[2:3]
	v_fma_f64 v[0:1], v[0:1], s[8:9], v[14:15]
	v_fma_f64 v[8:9], v[30:31], s[12:13], v[28:29]
	;; [unrolled: 1-line block ×7, first 2 shown]
	v_add_f64 v[26:27], v[2:3], v[18:19]
	v_fma_f64 v[2:3], v[6:7], s[12:13], v[0:1]
	v_mul_f64 v[22:23], v[16:17], s[22:23]
	v_mul_f64 v[16:17], v[16:17], s[16:17]
	;; [unrolled: 1-line block ×8, first 2 shown]
	v_fma_f64 v[22:23], v[14:15], s[8:9], v[22:23]
	v_fma_f64 v[100:101], v[14:15], s[22:23], v[16:17]
	;; [unrolled: 1-line block ×8, first 2 shown]
	v_add_f64 v[0:1], v[80:81], v[20:21]
	v_add_f64 v[2:3], v[86:87], v[26:27]
	;; [unrolled: 1-line block ×10, first 2 shown]
	v_add_f64 v[20:21], v[80:81], -v[20:21]
	v_mul_lo_u16_e32 v80, 10, v141
	v_add_f64 v[24:25], v[36:37], -v[22:23]
	v_add_f64 v[22:23], v[86:87], -v[26:27]
	;; [unrolled: 1-line block ×3, first 2 shown]
	v_lshlrev_b32_e32 v93, 4, v80
	s_barrier
	ds_write_b128 v93, v[40:43]
	ds_write_b128 v93, v[56:59] offset:16
	ds_write_b128 v93, v[48:51] offset:32
	;; [unrolled: 1-line block ×9, first 2 shown]
	v_mul_u32_u24_e32 v40, 10, v91
	v_add_f64 v[28:29], v[84:85], -v[94:95]
	v_add_f64 v[30:31], v[88:89], -v[30:31]
	v_lshlrev_b32_e32 v92, 4, v40
	v_add_f64 v[32:33], v[32:33], -v[96:97]
	v_add_f64 v[36:37], v[82:83], -v[98:99]
	v_add_f64 v[34:35], v[104:105], -v[34:35]
	v_add_f64 v[38:39], v[102:103], -v[38:39]
	ds_write_b128 v92, v[0:3]
	ds_write_b128 v92, v[4:7] offset:16
	ds_write_b128 v92, v[8:11] offset:32
	;; [unrolled: 1-line block ×9, first 2 shown]
	v_mul_lo_u16_sdwa v0, v141, s38 dst_sel:DWORD dst_unused:UNUSED_PAD src0_sel:BYTE_0 src1_sel:DWORD
	v_lshrrev_b16_e32 v100, 11, v0
	v_mul_lo_u16_e32 v0, 10, v100
	v_sub_u16_e32 v0, v141, v0
	v_and_b32_e32 v94, 0xff, v0
	v_mov_b32_e32 v0, s10
	s_movk_i32 s38, 0x90
	v_mov_b32_e32 v1, s11
	v_mad_u64_u32 v[0:1], s[38:39], v94, s38, v[0:1]
	s_waitcnt lgkmcnt(0)
	s_barrier
	global_load_dwordx4 v[28:31], v[0:1], off
	global_load_dwordx4 v[84:87], v[0:1], off offset:16
	global_load_dwordx4 v[24:27], v[0:1], off offset:32
	;; [unrolled: 1-line block ×8, first 2 shown]
	s_mov_b32 s38, 0xcccd
	v_mul_u32_u24_sdwa v0, v91, s38 dst_sel:DWORD dst_unused:UNUSED_PAD src0_sel:WORD_0 src1_sel:DWORD
	v_lshrrev_b32_e32 v101, 19, v0
	v_mul_lo_u16_e32 v0, 10, v101
	v_sub_u16_e32 v95, v91, v0
	v_mul_lo_u16_e32 v0, 0x90, v95
	v_add_co_u32_e32 v18, vcc, s10, v0
	v_addc_co_u32_e32 v19, vcc, 0, v90, vcc
	global_load_dwordx4 v[135:138], v[18:19], off
	global_load_dwordx4 v[131:134], v[18:19], off offset:16
	global_load_dwordx4 v[127:130], v[18:19], off offset:32
	;; [unrolled: 1-line block ×6, first 2 shown]
	ds_read_b128 v[0:3], v114 offset:5120
	ds_read_b128 v[4:7], v114 offset:10240
	;; [unrolled: 1-line block ×7, first 2 shown]
	global_load_dwordx4 v[146:149], v[18:19], off offset:112
	ds_read_b128 v[46:49], v114 offset:40960
	ds_read_b128 v[50:53], v114 offset:46080
	;; [unrolled: 1-line block ×8, first 2 shown]
	s_movk_i32 s39, 0x64
	v_cmp_gt_u16_e32 vcc, s39, v141
	s_movk_i32 s38, 0x140
	s_waitcnt vmcnt(16) lgkmcnt(14)
	v_mul_f64 v[16:17], v[2:3], v[30:31]
	v_mul_f64 v[20:21], v[0:1], v[30:31]
	v_mov_b32_e32 v33, v31
	v_mov_b32_e32 v32, v30
	;; [unrolled: 1-line block ×4, first 2 shown]
	s_waitcnt vmcnt(14)
	v_mov_b32_e32 v83, v27
	buffer_store_dword v30, off, s[40:43], 0 offset:604 ; 4-byte Folded Spill
	s_nop 0
	buffer_store_dword v31, off, s[40:43], 0 offset:608 ; 4-byte Folded Spill
	buffer_store_dword v32, off, s[40:43], 0 offset:612 ; 4-byte Folded Spill
	;; [unrolled: 1-line block ×3, first 2 shown]
	v_mov_b32_e32 v82, v26
	v_mov_b32_e32 v81, v25
	;; [unrolled: 1-line block ×3, first 2 shown]
	global_load_dwordx4 v[158:161], v[18:19], off offset:128
	s_nop 0
	buffer_store_dword v80, off, s[40:43], 0 offset:572 ; 4-byte Folded Spill
	s_nop 0
	buffer_store_dword v81, off, s[40:43], 0 offset:576 ; 4-byte Folded Spill
	buffer_store_dword v82, off, s[40:43], 0 offset:580 ; 4-byte Folded Spill
	;; [unrolled: 1-line block ×3, first 2 shown]
	v_fma_f64 v[16:17], v[0:1], v[28:29], -v[16:17]
	s_waitcnt lgkmcnt(13)
	v_mul_f64 v[0:1], v[6:7], v[86:87]
	v_mul_f64 v[22:23], v[4:5], v[86:87]
	s_waitcnt vmcnt(22)
	buffer_store_dword v76, off, s[40:43], 0 offset:556 ; 4-byte Folded Spill
	s_nop 0
	buffer_store_dword v77, off, s[40:43], 0 offset:560 ; 4-byte Folded Spill
	buffer_store_dword v78, off, s[40:43], 0 offset:564 ; 4-byte Folded Spill
	;; [unrolled: 1-line block ×4, first 2 shown]
	s_nop 0
	buffer_store_dword v85, off, s[40:43], 0 offset:592 ; 4-byte Folded Spill
	buffer_store_dword v86, off, s[40:43], 0 offset:596 ; 4-byte Folded Spill
	buffer_store_dword v87, off, s[40:43], 0 offset:600 ; 4-byte Folded Spill
	s_waitcnt vmcnt(29)
	buffer_store_dword v115, off, s[40:43], 0 offset:540 ; 4-byte Folded Spill
	s_nop 0
	buffer_store_dword v116, off, s[40:43], 0 offset:544 ; 4-byte Folded Spill
	buffer_store_dword v117, off, s[40:43], 0 offset:548 ; 4-byte Folded Spill
	buffer_store_dword v118, off, s[40:43], 0 offset:552 ; 4-byte Folded Spill
	s_waitcnt vmcnt(32)
	buffer_store_dword v110, off, s[40:43], 0 offset:524 ; 4-byte Folded Spill
	;; [unrolled: 6-line block ×7, first 2 shown]
	s_nop 0
	buffer_store_dword v132, off, s[40:43], 0 offset:448 ; 4-byte Folded Spill
	buffer_store_dword v133, off, s[40:43], 0 offset:452 ; 4-byte Folded Spill
	;; [unrolled: 1-line block ×3, first 2 shown]
	s_waitcnt lgkmcnt(12)
	v_mul_f64 v[28:29], v[10:11], v[26:27]
	s_waitcnt vmcnt(50)
	buffer_store_dword v127, off, s[40:43], 0 offset:428 ; 4-byte Folded Spill
	s_nop 0
	buffer_store_dword v128, off, s[40:43], 0 offset:432 ; 4-byte Folded Spill
	buffer_store_dword v129, off, s[40:43], 0 offset:436 ; 4-byte Folded Spill
	buffer_store_dword v130, off, s[40:43], 0 offset:440 ; 4-byte Folded Spill
	s_waitcnt vmcnt(53)
	buffer_store_dword v123, off, s[40:43], 0 offset:412 ; 4-byte Folded Spill
	s_nop 0
	buffer_store_dword v124, off, s[40:43], 0 offset:416 ; 4-byte Folded Spill
	buffer_store_dword v125, off, s[40:43], 0 offset:420 ; 4-byte Folded Spill
	buffer_store_dword v126, off, s[40:43], 0 offset:424 ; 4-byte Folded Spill
	;; [unrolled: 6-line block ×3, first 2 shown]
	v_fma_f64 v[18:19], v[2:3], v[30:31], v[20:21]
	v_mul_f64 v[2:3], v[8:9], v[82:83]
	v_fma_f64 v[20:21], v[8:9], v[80:81], -v[28:29]
	s_waitcnt lgkmcnt(11)
	v_mul_f64 v[30:31], v[14:15], v[78:79]
	v_fma_f64 v[26:27], v[4:5], v[84:85], -v[0:1]
	v_fma_f64 v[24:25], v[6:7], v[84:85], v[22:23]
	s_waitcnt lgkmcnt(10)
	v_mul_f64 v[0:1], v[36:37], v[117:118]
	v_fma_f64 v[22:23], v[10:11], v[80:81], v[2:3]
	s_waitcnt lgkmcnt(9)
	v_mul_f64 v[2:3], v[40:41], v[112:113]
	v_mul_f64 v[74:75], v[12:13], v[78:79]
	;; [unrolled: 1-line block ×4, first 2 shown]
	v_fma_f64 v[32:33], v[12:13], v[76:77], -v[30:31]
	s_waitcnt lgkmcnt(8)
	v_mul_f64 v[8:9], v[44:45], v[108:109]
	v_fma_f64 v[34:35], v[34:35], v[115:116], -v[0:1]
	v_mul_f64 v[0:1], v[42:43], v[108:109]
	v_fma_f64 v[78:79], v[38:39], v[110:111], -v[2:3]
	s_waitcnt lgkmcnt(6)
	v_mul_f64 v[2:3], v[52:53], v[121:122]
	v_fma_f64 v[28:29], v[14:15], v[76:77], v[74:75]
	v_fma_f64 v[76:77], v[40:41], v[110:111], v[6:7]
	v_mul_f64 v[6:7], v[50:51], v[121:122]
	v_fma_f64 v[30:31], v[36:37], v[115:116], v[4:5]
	v_mul_f64 v[4:5], v[48:49], v[104:105]
	v_fma_f64 v[38:39], v[44:45], v[106:107], v[0:1]
	s_waitcnt lgkmcnt(5)
	v_mul_f64 v[0:1], v[56:57], v[137:138]
	v_fma_f64 v[86:87], v[50:51], v[119:120], -v[2:3]
	s_waitcnt lgkmcnt(4)
	v_mul_f64 v[2:3], v[58:59], v[133:134]
	v_fma_f64 v[36:37], v[42:43], v[106:107], -v[8:9]
	v_fma_f64 v[80:81], v[52:53], v[119:120], v[6:7]
	s_waitcnt lgkmcnt(3)
	v_mul_f64 v[6:7], v[64:65], v[129:130]
	v_fma_f64 v[84:85], v[46:47], v[102:103], -v[4:5]
	v_mul_f64 v[4:5], v[54:55], v[137:138]
	v_fma_f64 v[40:41], v[54:55], v[135:136], -v[0:1]
	v_mul_f64 v[10:11], v[46:47], v[104:105]
	v_fma_f64 v[50:51], v[60:61], v[131:132], v[2:3]
	ds_read_b128 v[0:3], v114 offset:38400
	s_waitcnt vmcnt(59)
	buffer_store_dword v150, off, s[40:43], 0 offset:380 ; 4-byte Folded Spill
	s_nop 0
	buffer_store_dword v151, off, s[40:43], 0 offset:384 ; 4-byte Folded Spill
	buffer_store_dword v152, off, s[40:43], 0 offset:388 ; 4-byte Folded Spill
	;; [unrolled: 1-line block ×3, first 2 shown]
	v_mul_f64 v[8:9], v[60:61], v[133:134]
	v_fma_f64 v[46:47], v[62:63], v[127:128], -v[6:7]
	v_fma_f64 v[42:43], v[56:57], v[135:136], v[4:5]
	s_waitcnt lgkmcnt(3)
	v_mul_f64 v[4:5], v[68:69], v[125:126]
	s_waitcnt lgkmcnt(2)
	v_mul_f64 v[6:7], v[72:73], v[156:157]
	s_waitcnt vmcnt(62)
	buffer_store_dword v142, off, s[40:43], 0 offset:364 ; 4-byte Folded Spill
	s_nop 0
	buffer_store_dword v143, off, s[40:43], 0 offset:368 ; 4-byte Folded Spill
	buffer_store_dword v144, off, s[40:43], 0 offset:372 ; 4-byte Folded Spill
	buffer_store_dword v145, off, s[40:43], 0 offset:376 ; 4-byte Folded Spill
	v_fma_f64 v[82:83], v[48:49], v[102:103], v[10:11]
	v_mul_f64 v[10:11], v[62:63], v[129:130]
	v_fma_f64 v[48:49], v[58:59], v[131:132], -v[8:9]
	v_mul_f64 v[8:9], v[66:67], v[125:126]
	v_add_f64 v[121:122], v[22:23], -v[80:81]
	v_fma_f64 v[56:57], v[66:67], v[123:124], -v[4:5]
	v_fma_f64 v[58:59], v[70:71], v[154:155], -v[6:7]
	v_add_f64 v[117:118], v[20:21], -v[86:87]
	v_add_f64 v[119:120], v[34:35], -v[36:37]
	v_fma_f64 v[44:45], v[64:65], v[127:128], v[10:11]
	v_mul_f64 v[10:11], v[70:71], v[156:157]
	v_fma_f64 v[54:55], v[68:69], v[123:124], v[8:9]
	v_add_f64 v[123:124], v[30:31], -v[38:39]
	v_add_f64 v[127:128], v[24:25], -v[82:83]
	;; [unrolled: 1-line block ×5, first 2 shown]
	v_fma_f64 v[52:53], v[72:73], v[154:155], v[10:11]
	s_waitcnt lgkmcnt(1)
	v_mul_f64 v[4:5], v[98:99], v[152:153]
	v_mul_f64 v[8:9], v[96:97], v[152:153]
	s_waitcnt lgkmcnt(0)
	v_mul_f64 v[10:11], v[2:3], v[144:145]
	v_mul_f64 v[12:13], v[0:1], v[144:145]
	v_fma_f64 v[66:67], v[96:97], v[150:151], -v[4:5]
	ds_read_b128 v[4:7], v114 offset:43520
	s_waitcnt vmcnt(62)
	buffer_store_dword v146, off, s[40:43], 0 offset:348 ; 4-byte Folded Spill
	s_nop 0
	buffer_store_dword v147, off, s[40:43], 0 offset:352 ; 4-byte Folded Spill
	buffer_store_dword v148, off, s[40:43], 0 offset:356 ; 4-byte Folded Spill
	;; [unrolled: 1-line block ×3, first 2 shown]
	v_fma_f64 v[64:65], v[98:99], v[150:151], v[8:9]
	v_fma_f64 v[62:63], v[0:1], v[142:143], -v[10:11]
	v_fma_f64 v[60:61], v[2:3], v[142:143], v[12:13]
	s_waitcnt lgkmcnt(0)
	v_mul_f64 v[0:1], v[6:7], v[148:149]
	v_mul_f64 v[2:3], v[4:5], v[148:149]
	v_fma_f64 v[70:71], v[4:5], v[146:147], -v[0:1]
	v_fma_f64 v[68:69], v[6:7], v[146:147], v[2:3]
	ds_read_b128 v[0:3], v114 offset:48640
	s_waitcnt vmcnt(62)
	buffer_store_dword v158, off, s[40:43], 0 offset:620 ; 4-byte Folded Spill
	s_nop 0
	buffer_store_dword v159, off, s[40:43], 0 offset:624 ; 4-byte Folded Spill
	buffer_store_dword v160, off, s[40:43], 0 offset:628 ; 4-byte Folded Spill
	;; [unrolled: 1-line block ×3, first 2 shown]
	v_add_f64 v[6:7], v[18:19], v[22:23]
	v_add_f64 v[6:7], v[6:7], v[30:31]
	v_add_f64 v[6:7], v[6:7], v[38:39]
	v_add_f64 v[6:7], v[6:7], v[80:81]
	s_waitcnt lgkmcnt(0)
	v_mul_f64 v[4:5], v[2:3], v[160:161]
	v_fma_f64 v[72:73], v[0:1], v[158:159], -v[4:5]
	v_mul_f64 v[0:1], v[0:1], v[160:161]
	v_add_f64 v[4:5], v[32:33], v[78:79]
	v_fma_f64 v[74:75], v[2:3], v[158:159], v[0:1]
	ds_read_b128 v[0:3], v114
	s_waitcnt lgkmcnt(0)
	v_fma_f64 v[88:89], v[4:5], -0.5, v[0:1]
	v_add_f64 v[4:5], v[26:27], v[84:85]
	v_fma_f64 v[96:97], v[4:5], -0.5, v[0:1]
	v_add_f64 v[4:5], v[28:29], v[76:77]
	v_add_f64 v[0:1], v[0:1], v[26:27]
	v_fma_f64 v[98:99], v[4:5], -0.5, v[2:3]
	v_add_f64 v[4:5], v[24:25], v[82:83]
	;; [unrolled: 3-line block ×3, first 2 shown]
	v_add_f64 v[4:5], v[16:17], v[20:21]
	v_add_f64 v[0:1], v[0:1], v[78:79]
	;; [unrolled: 1-line block ×11, first 2 shown]
	v_add_f64 v[4:5], v[8:9], -v[4:5]
	v_add_f64 v[6:7], v[10:11], -v[6:7]
	;; [unrolled: 1-line block ×6, first 2 shown]
	v_add_f64 v[84:85], v[42:43], v[44:45]
	v_add_f64 v[104:105], v[8:9], v[10:11]
	v_add_f64 v[8:9], v[24:25], -v[28:29]
	v_add_f64 v[10:11], v[82:83], -v[76:77]
	;; [unrolled: 1-line block ×4, first 2 shown]
	v_add_f64 v[26:27], v[26:27], v[32:33]
	v_add_f64 v[82:83], v[48:49], v[70:71]
	;; [unrolled: 1-line block ×4, first 2 shown]
	v_add_f64 v[8:9], v[20:21], -v[34:35]
	v_add_f64 v[10:11], v[86:87], -v[36:37]
	v_add_f64 v[24:25], v[24:25], v[28:29]
	v_add_f64 v[84:85], v[84:85], v[60:61]
	;; [unrolled: 1-line block ×3, first 2 shown]
	v_add_f64 v[8:9], v[22:23], -v[30:31]
	v_add_f64 v[10:11], v[80:81], -v[38:39]
	v_add_f64 v[84:85], v[84:85], v[74:75]
	v_add_f64 v[110:111], v[8:9], v[10:11]
	;; [unrolled: 1-line block ×3, first 2 shown]
	v_add_f64 v[34:35], v[34:35], -v[20:21]
	v_add_f64 v[20:21], v[20:21], v[86:87]
	v_add_f64 v[36:37], v[36:37], -v[86:87]
	v_fma_f64 v[112:113], v[8:9], -0.5, v[16:17]
	v_add_f64 v[8:9], v[30:31], v[38:39]
	v_add_f64 v[30:31], v[30:31], -v[22:23]
	v_add_f64 v[22:23], v[22:23], v[80:81]
	v_add_f64 v[38:39], v[38:39], -v[80:81]
	v_fma_f64 v[28:29], v[20:21], -0.5, v[16:17]
	v_add_f64 v[32:33], v[34:35], v[36:37]
	v_fma_f64 v[10:11], v[121:122], s[6:7], v[112:113]
	v_fma_f64 v[115:116], v[8:9], -0.5, v[18:19]
	v_fma_f64 v[76:77], v[22:23], -0.5, v[18:19]
	v_add_f64 v[30:31], v[30:31], v[38:39]
	v_fma_f64 v[18:19], v[123:124], s[14:15], v[28:29]
	v_fma_f64 v[10:11], v[123:124], s[8:9], v[10:11]
	;; [unrolled: 1-line block ×13, first 2 shown]
	v_mul_f64 v[12:13], v[8:9], s[8:9]
	v_mul_f64 v[20:21], v[16:17], s[6:7]
	v_fma_f64 v[125:126], v[10:11], s[22:23], v[12:13]
	v_mul_f64 v[10:11], v[10:11], s[16:17]
	v_fma_f64 v[34:35], v[18:19], s[12:13], v[20:21]
	;; [unrolled: 2-line block ×3, first 2 shown]
	v_fma_f64 v[12:13], v[131:132], s[14:15], v[98:99]
	v_fma_f64 v[10:11], v[8:9], s[22:23], v[10:11]
	;; [unrolled: 1-line block ×13, first 2 shown]
	v_add_f64 v[22:23], v[36:37], v[18:19]
	v_add_f64 v[18:19], v[36:37], -v[18:19]
	v_add_f64 v[14:15], v[135:136], v[10:11]
	v_add_f64 v[10:11], v[135:136], -v[10:11]
	v_add_f64 v[135:136], v[56:57], -v[66:67]
	v_add_f64 v[12:13], v[8:9], v[125:126]
	v_add_f64 v[8:9], v[8:9], -v[125:126]
	v_add_f64 v[20:21], v[16:17], v[34:35]
	v_add_f64 v[16:17], v[16:17], -v[34:35]
	v_fma_f64 v[34:35], v[129:130], s[6:7], v[96:97]
	v_add_f64 v[125:126], v[44:45], -v[74:75]
	v_fma_f64 v[34:35], v[127:128], s[16:17], v[34:35]
	v_fma_f64 v[26:27], v[26:27], s[12:13], v[34:35]
	;; [unrolled: 1-line block ×11, first 2 shown]
	v_mul_f64 v[30:31], v[24:25], s[20:21]
	v_fma_f64 v[32:33], v[28:29], s[6:7], v[30:31]
	v_mul_f64 v[28:29], v[28:29], s[20:21]
	v_fma_f64 v[36:37], v[24:25], s[14:15], v[28:29]
	v_add_f64 v[28:29], v[26:27], v[32:33]
	v_add_f64 v[24:25], v[26:27], -v[32:33]
	v_fma_f64 v[32:33], v[121:122], s[14:15], v[112:113]
	v_add_f64 v[121:122], v[46:47], -v[72:73]
	v_add_f64 v[30:31], v[34:35], v[36:37]
	v_add_f64 v[26:27], v[34:35], -v[36:37]
	v_fma_f64 v[36:37], v[131:132], s[6:7], v[98:99]
	v_fma_f64 v[32:33], v[123:124], s[16:17], v[32:33]
	;; [unrolled: 1-line block ×3, first 2 shown]
	v_add_f64 v[127:128], v[52:53], -v[60:61]
	v_add_f64 v[123:124], v[58:59], -v[62:63]
	;; [unrolled: 1-line block ×3, first 2 shown]
	v_fma_f64 v[36:37], v[133:134], s[8:9], v[36:37]
	v_fma_f64 v[32:33], v[108:109], s[12:13], v[32:33]
	;; [unrolled: 1-line block ×3, first 2 shown]
	v_add_f64 v[129:130], v[50:51], -v[68:69]
	v_add_f64 v[133:134], v[48:49], -v[70:71]
	v_fma_f64 v[76:77], v[106:107], s[12:13], v[36:37]
	v_fma_f64 v[36:37], v[110:111], s[12:13], v[38:39]
	v_mul_f64 v[38:39], v[32:33], s[18:19]
	v_fma_f64 v[34:35], v[104:105], s[12:13], v[34:35]
	v_fma_f64 v[78:79], v[36:37], s[8:9], v[38:39]
	v_mul_f64 v[36:37], v[36:37], s[18:19]
	v_fma_f64 v[80:81], v[32:33], s[16:17], v[36:37]
	v_add_f64 v[36:37], v[34:35], v[78:79]
	v_add_f64 v[32:33], v[34:35], -v[78:79]
	v_add_f64 v[38:39], v[76:77], v[80:81]
	v_add_f64 v[34:35], v[76:77], -v[80:81]
	ds_read_b128 v[78:81], v114 offset:2560
	v_add_f64 v[76:77], v[56:57], v[66:67]
	s_waitcnt vmcnt(0) lgkmcnt(0)
	s_barrier
	v_fma_f64 v[102:103], v[82:83], -0.5, v[78:79]
	v_add_f64 v[82:83], v[54:55], v[64:65]
	v_fma_f64 v[76:77], v[76:77], -0.5, v[78:79]
	v_add_f64 v[78:79], v[78:79], v[48:49]
	v_fma_f64 v[104:105], v[82:83], -0.5, v[80:81]
	v_add_f64 v[82:83], v[50:51], v[68:69]
	v_add_f64 v[78:79], v[78:79], v[56:57]
	v_fma_f64 v[106:107], v[82:83], -0.5, v[80:81]
	v_add_f64 v[80:81], v[80:81], v[50:51]
	v_add_f64 v[82:83], v[40:41], v[46:47]
	;; [unrolled: 1-line block ×12, first 2 shown]
	v_add_f64 v[82:83], v[86:87], -v[82:83]
	v_add_f64 v[84:85], v[88:89], -v[84:85]
	;; [unrolled: 1-line block ×6, first 2 shown]
	v_add_f64 v[108:109], v[86:87], v[88:89]
	v_add_f64 v[86:87], v[50:51], -v[54:55]
	v_add_f64 v[88:89], v[68:69], -v[64:65]
	v_add_f64 v[50:51], v[54:55], -v[50:51]
	v_add_f64 v[54:55], v[64:65], -v[68:69]
	v_add_f64 v[48:49], v[48:49], v[56:57]
	v_add_f64 v[110:111], v[86:87], v[88:89]
	v_add_f64 v[86:87], v[46:47], -v[58:59]
	v_add_f64 v[88:89], v[72:73], -v[62:63]
	v_add_f64 v[50:51], v[50:51], v[54:55]
	v_add_f64 v[112:113], v[86:87], v[88:89]
	v_add_f64 v[86:87], v[44:45], -v[52:53]
	v_add_f64 v[88:89], v[74:75], -v[60:61]
	v_add_f64 v[115:116], v[86:87], v[88:89]
	v_add_f64 v[86:87], v[58:59], v[62:63]
	v_add_f64 v[58:59], v[58:59], -v[46:47]
	v_add_f64 v[46:47], v[46:47], v[72:73]
	v_add_f64 v[62:63], v[62:63], -v[72:73]
	v_fma_f64 v[117:118], v[86:87], -0.5, v[40:41]
	v_add_f64 v[86:87], v[52:53], v[60:61]
	v_add_f64 v[52:53], v[52:53], -v[44:45]
	v_add_f64 v[44:45], v[44:45], v[74:75]
	v_add_f64 v[60:61], v[60:61], -v[74:75]
	v_fma_f64 v[54:55], v[46:47], -0.5, v[40:41]
	v_add_f64 v[56:57], v[58:59], v[62:63]
	v_fma_f64 v[88:89], v[125:126], s[6:7], v[117:118]
	v_fma_f64 v[119:120], v[86:87], -0.5, v[42:43]
	v_fma_f64 v[64:65], v[44:45], -0.5, v[42:43]
	v_add_f64 v[52:53], v[52:53], v[60:61]
	v_fma_f64 v[42:43], v[127:128], s[14:15], v[54:55]
	v_fma_f64 v[88:89], v[127:128], s[8:9], v[88:89]
	;; [unrolled: 1-line block ×13, first 2 shown]
	v_mul_f64 v[96:97], v[86:87], s[8:9]
	v_mul_f64 v[44:45], v[40:41], s[6:7]
	v_fma_f64 v[96:97], v[88:89], s[22:23], v[96:97]
	v_mul_f64 v[88:89], v[88:89], s[16:17]
	v_fma_f64 v[44:45], v[42:43], s[12:13], v[44:45]
	;; [unrolled: 2-line block ×3, first 2 shown]
	v_fma_f64 v[86:87], v[129:130], s[6:7], v[76:77]
	v_fma_f64 v[46:47], v[40:41], s[12:13], v[42:43]
	;; [unrolled: 1-line block ×13, first 2 shown]
	v_add_f64 v[86:87], v[137:138], v[96:97]
	v_add_f64 v[96:97], v[137:138], -v[96:97]
	v_add_f64 v[40:41], v[58:59], v[44:45]
	v_add_f64 v[44:45], v[58:59], -v[44:45]
	v_fma_f64 v[58:59], v[131:132], s[6:7], v[102:103]
	v_add_f64 v[42:43], v[60:61], v[46:47]
	v_add_f64 v[46:47], v[60:61], -v[46:47]
	v_add_f64 v[88:89], v[139:140], v[98:99]
	v_add_f64 v[98:99], v[139:140], -v[98:99]
	v_fma_f64 v[58:59], v[129:130], s[16:17], v[58:59]
	v_fma_f64 v[58:59], v[48:49], s[12:13], v[58:59]
	;; [unrolled: 1-line block ×12, first 2 shown]
	v_mul_f64 v[52:53], v[48:49], s[20:21]
	v_fma_f64 v[56:57], v[127:128], s[16:17], v[56:57]
	v_fma_f64 v[52:53], v[50:51], s[6:7], v[52:53]
	v_mul_f64 v[50:51], v[50:51], s[20:21]
	v_fma_f64 v[56:57], v[112:113], s[12:13], v[56:57]
	v_fma_f64 v[54:55], v[48:49], s[14:15], v[50:51]
	v_add_f64 v[48:49], v[58:59], v[52:53]
	v_add_f64 v[52:53], v[58:59], -v[52:53]
	v_fma_f64 v[58:59], v[129:130], s[14:15], v[76:77]
	v_add_f64 v[50:51], v[60:61], v[54:55]
	v_add_f64 v[54:55], v[60:61], -v[54:55]
	v_fma_f64 v[60:61], v[133:134], s[6:7], v[104:105]
	v_fma_f64 v[58:59], v[131:132], s[16:17], v[58:59]
	;; [unrolled: 1-line block ×6, first 2 shown]
	v_mul_f64 v[62:63], v[56:57], s[18:19]
	v_fma_f64 v[65:66], v[60:61], s[8:9], v[62:63]
	v_mul_f64 v[60:61], v[60:61], s[18:19]
	v_fma_f64 v[56:57], v[56:57], s[16:17], v[60:61]
	v_add_f64 v[61:62], v[58:59], v[65:66]
	v_add_f64 v[65:66], v[58:59], -v[65:66]
	v_add_f64 v[63:64], v[67:68], v[56:57]
	v_add_f64 v[67:68], v[67:68], -v[56:57]
	v_mul_u32_u24_e32 v56, 0x64, v100
	v_add_lshl_u32 v100, v56, v94, 4
	ds_write_b128 v100, v[0:3]
	v_mad_legacy_u16 v0, v101, s39, v95
	v_lshlrev_b32_e32 v155, 4, v0
	v_add_u32_e32 v0, 0xffffff9c, v141
	v_cndmask_b32_e32 v3, v0, v141, vcc
	v_mul_i32_i24_e32 v0, 48, v3
	v_mul_hi_i32_i24_e32 v1, 48, v3
	v_add_co_u32_e32 v0, vcc, s10, v0
	v_addc_co_u32_e32 v1, vcc, v90, v1, vcc
	ds_write_b128 v100, v[12:15] offset:160
	ds_write_b128 v100, v[20:23] offset:320
	;; [unrolled: 1-line block ×9, first 2 shown]
	ds_write_b128 v155, v[78:81]
	ds_write_b128 v155, v[86:89] offset:160
	ds_write_b128 v155, v[40:43] offset:320
	;; [unrolled: 1-line block ×9, first 2 shown]
	s_waitcnt lgkmcnt(0)
	s_barrier
	global_load_dwordx4 v[44:47], v[0:1], off offset:1472
	global_load_dwordx4 v[48:51], v[0:1], off offset:1456
	;; [unrolled: 1-line block ×3, first 2 shown]
	v_lshrrev_b16_e32 v0, 2, v91
	v_mul_u32_u24_e32 v0, 0x147b, v0
	v_lshrrev_b32_e32 v1, 17, v0
	v_mul_lo_u16_e32 v0, 0x64, v1
	v_sub_u16_e32 v2, v91, v0
	v_mul_lo_u16_e32 v0, 48, v2
	v_add_co_u32_e32 v4, vcc, s10, v0
	v_addc_co_u32_e32 v5, vcc, 0, v90, vcc
	global_load_dwordx4 v[64:67], v[4:5], off offset:1440
	v_add_co_u32_e32 v0, vcc, s38, v141
	global_load_dwordx4 v[56:59], v[4:5], off offset:1472
	global_load_dwordx4 v[60:63], v[4:5], off offset:1456
	v_lshrrev_b16_e32 v4, 2, v0
	v_mul_u32_u24_e32 v4, 0x147b, v4
	v_lshrrev_b32_e32 v4, 17, v4
	v_mul_lo_u16_e32 v5, 0x64, v4
	v_sub_u16_e32 v5, v0, v5
	v_mul_lo_u16_e32 v6, 48, v5
	v_add_co_u32_e32 v6, vcc, s10, v6
	v_addc_co_u32_e32 v7, vcc, 0, v90, vcc
	global_load_dwordx4 v[76:79], v[6:7], off offset:1440
	global_load_dwordx4 v[72:75], v[6:7], off offset:1456
	;; [unrolled: 1-line block ×3, first 2 shown]
	ds_read_b128 v[6:9], v114 offset:12800
	ds_read_b128 v[10:13], v114 offset:25600
	;; [unrolled: 1-line block ×4, first 2 shown]
	s_waitcnt vmcnt(6)
	buffer_store_dword v52, off, s[40:43], 0 offset:700 ; 4-byte Folded Spill
	s_nop 0
	buffer_store_dword v53, off, s[40:43], 0 offset:704 ; 4-byte Folded Spill
	buffer_store_dword v54, off, s[40:43], 0 offset:708 ; 4-byte Folded Spill
	;; [unrolled: 1-line block ×4, first 2 shown]
	s_nop 0
	buffer_store_dword v49, off, s[40:43], 0 offset:688 ; 4-byte Folded Spill
	buffer_store_dword v50, off, s[40:43], 0 offset:692 ; 4-byte Folded Spill
	;; [unrolled: 1-line block ×3, first 2 shown]
	ds_read_b128 v[22:25], v114 offset:28160
	ds_read_b128 v[26:29], v114 offset:40960
	buffer_store_dword v44, off, s[40:43], 0 offset:668 ; 4-byte Folded Spill
	s_nop 0
	buffer_store_dword v45, off, s[40:43], 0 offset:672 ; 4-byte Folded Spill
	buffer_store_dword v46, off, s[40:43], 0 offset:676 ; 4-byte Folded Spill
	;; [unrolled: 1-line block ×3, first 2 shown]
	s_waitcnt vmcnt(17)
	buffer_store_dword v64, off, s[40:43], 0 offset:652 ; 4-byte Folded Spill
	s_nop 0
	buffer_store_dword v65, off, s[40:43], 0 offset:656 ; 4-byte Folded Spill
	buffer_store_dword v66, off, s[40:43], 0 offset:660 ; 4-byte Folded Spill
	;; [unrolled: 1-line block ×3, first 2 shown]
	s_waitcnt vmcnt(19)
	buffer_store_dword v60, off, s[40:43], 0 offset:636 ; 4-byte Folded Spill
	s_nop 0
	buffer_store_dword v61, off, s[40:43], 0 offset:640 ; 4-byte Folded Spill
	buffer_store_dword v62, off, s[40:43], 0 offset:644 ; 4-byte Folded Spill
	;; [unrolled: 1-line block ×3, first 2 shown]
	s_movk_i32 s38, 0x63
	s_waitcnt lgkmcnt(5)
	v_mul_f64 v[30:31], v[8:9], v[54:55]
	v_mul_f64 v[32:33], v[6:7], v[54:55]
	s_waitcnt lgkmcnt(4)
	v_mul_f64 v[34:35], v[12:13], v[50:51]
	v_mul_f64 v[36:37], v[10:11], v[50:51]
	;; [unrolled: 3-line block ×3, first 2 shown]
	v_fma_f64 v[30:31], v[6:7], v[52:53], -v[30:31]
	v_fma_f64 v[32:33], v[8:9], v[52:53], v[32:33]
	v_mov_b32_e32 v50, v56
	v_mov_b32_e32 v51, v57
	;; [unrolled: 1-line block ×4, first 2 shown]
	ds_read_b128 v[6:9], v114 offset:17920
	s_waitcnt vmcnt(22)
	buffer_store_dword v76, off, s[40:43], 0 offset:716 ; 4-byte Folded Spill
	s_nop 0
	buffer_store_dword v77, off, s[40:43], 0 offset:720 ; 4-byte Folded Spill
	buffer_store_dword v78, off, s[40:43], 0 offset:724 ; 4-byte Folded Spill
	;; [unrolled: 1-line block ×4, first 2 shown]
	s_nop 0
	buffer_store_dword v51, off, s[40:43], 0 offset:768 ; 4-byte Folded Spill
	buffer_store_dword v52, off, s[40:43], 0 offset:772 ; 4-byte Folded Spill
	;; [unrolled: 1-line block ×3, first 2 shown]
	v_fma_f64 v[34:35], v[10:11], v[48:49], -v[34:35]
	s_waitcnt lgkmcnt(3)
	v_mul_f64 v[10:11], v[20:21], v[66:67]
	v_fma_f64 v[36:37], v[12:13], v[48:49], v[36:37]
	v_fma_f64 v[16:17], v[16:17], v[44:45], v[40:41]
	s_waitcnt lgkmcnt(2)
	v_mul_f64 v[12:13], v[24:25], v[62:63]
	v_fma_f64 v[14:15], v[14:15], v[44:45], -v[38:39]
	v_mul_f64 v[42:43], v[18:19], v[66:67]
	v_mul_f64 v[38:39], v[22:23], v[62:63]
	v_fma_f64 v[40:41], v[18:19], v[64:65], -v[10:11]
	s_waitcnt lgkmcnt(1)
	v_mul_f64 v[10:11], v[28:29], v[58:59]
	v_mul_f64 v[18:19], v[26:27], v[58:59]
	v_fma_f64 v[44:45], v[22:23], v[60:61], -v[12:13]
	v_add_f64 v[86:87], v[30:31], -v[14:15]
	v_fma_f64 v[42:43], v[20:21], v[64:65], v[42:43]
	v_fma_f64 v[38:39], v[24:25], v[60:61], v[38:39]
	v_add_f64 v[88:89], v[32:33], -v[16:17]
	s_waitcnt lgkmcnt(0)
	v_mul_f64 v[20:21], v[8:9], v[78:79]
	v_fma_f64 v[46:47], v[26:27], v[50:51], -v[10:11]
	ds_read_b128 v[10:13], v114 offset:30720
	s_waitcnt vmcnt(29)
	buffer_store_dword v72, off, s[40:43], 0 offset:748 ; 4-byte Folded Spill
	s_nop 0
	buffer_store_dword v73, off, s[40:43], 0 offset:752 ; 4-byte Folded Spill
	buffer_store_dword v74, off, s[40:43], 0 offset:756 ; 4-byte Folded Spill
	;; [unrolled: 1-line block ×3, first 2 shown]
	v_mul_f64 v[22:23], v[6:7], v[78:79]
	v_fma_f64 v[48:49], v[28:29], v[50:51], v[18:19]
	v_fma_f64 v[50:51], v[6:7], v[76:77], -v[20:21]
	v_fma_f64 v[52:53], v[8:9], v[76:77], v[22:23]
	s_waitcnt lgkmcnt(0)
	v_mul_f64 v[6:7], v[12:13], v[74:75]
	v_mul_f64 v[8:9], v[10:11], v[74:75]
	v_fma_f64 v[54:55], v[10:11], v[72:73], -v[6:7]
	v_fma_f64 v[56:57], v[12:13], v[72:73], v[8:9]
	ds_read_b128 v[6:9], v114 offset:43520
	s_waitcnt vmcnt(32)
	buffer_store_dword v68, off, s[40:43], 0 offset:732 ; 4-byte Folded Spill
	s_nop 0
	buffer_store_dword v69, off, s[40:43], 0 offset:736 ; 4-byte Folded Spill
	buffer_store_dword v70, off, s[40:43], 0 offset:740 ; 4-byte Folded Spill
	;; [unrolled: 1-line block ×3, first 2 shown]
	s_waitcnt lgkmcnt(0)
	v_mul_f64 v[10:11], v[8:9], v[70:71]
	v_fma_f64 v[58:59], v[6:7], v[68:69], -v[10:11]
	v_mul_f64 v[6:7], v[6:7], v[70:71]
	v_fma_f64 v[60:61], v[8:9], v[68:69], v[6:7]
	v_add_u16_e32 v7, 0x1e0, v141
	v_lshrrev_b16_e32 v6, 2, v7
	v_mul_u32_u24_e32 v6, 0x147b, v6
	v_lshrrev_b32_e32 v6, 17, v6
	v_mul_lo_u16_e32 v8, 0x64, v6
	v_sub_u16_e32 v7, v7, v8
	v_mul_lo_u16_e32 v8, 48, v7
	v_add_co_u32_e32 v12, vcc, s10, v8
	v_addc_co_u32_e32 v13, vcc, 0, v90, vcc
	global_load_dwordx4 v[188:191], v[12:13], off offset:1440
	global_load_dwordx4 v[192:195], v[12:13], off offset:1456
	;; [unrolled: 1-line block ×3, first 2 shown]
	ds_read_b128 v[8:11], v114 offset:20480
	s_waitcnt vmcnt(2) lgkmcnt(0)
	v_mul_f64 v[18:19], v[10:11], v[190:191]
	v_fma_f64 v[62:63], v[8:9], v[188:189], -v[18:19]
	v_mul_f64 v[8:9], v[8:9], v[190:191]
	v_fma_f64 v[64:65], v[10:11], v[188:189], v[8:9]
	ds_read_b128 v[8:11], v114 offset:33280
	s_waitcnt vmcnt(1) lgkmcnt(0)
	v_mul_f64 v[18:19], v[10:11], v[194:195]
	v_fma_f64 v[66:67], v[8:9], v[192:193], -v[18:19]
	v_mul_f64 v[8:9], v[8:9], v[194:195]
	v_fma_f64 v[68:69], v[10:11], v[192:193], v[8:9]
	;; [unrolled: 6-line block ×3, first 2 shown]
	v_add_u16_e32 v9, 0x280, v141
	v_lshrrev_b16_e32 v8, 2, v9
	v_mul_u32_u24_e32 v8, 0x147b, v8
	v_lshrrev_b32_e32 v8, 17, v8
	v_mul_lo_u16_e32 v10, 0x64, v8
	v_sub_u16_e32 v9, v9, v10
	v_mul_lo_u16_e32 v10, 48, v9
	v_add_co_u32_e32 v18, vcc, s10, v10
	v_addc_co_u32_e32 v19, vcc, 0, v90, vcc
	global_load_dwordx4 v[200:203], v[18:19], off offset:1440
	global_load_dwordx4 v[204:207], v[18:19], off offset:1456
	;; [unrolled: 1-line block ×3, first 2 shown]
	ds_read_b128 v[10:13], v114 offset:23040
	v_cmp_lt_u16_e32 vcc, s38, v141
	s_movk_i32 s38, 0x190
	v_mad_legacy_u16 v1, v1, s38, v2
	v_lshlrev_b32_e32 v1, 4, v1
	s_waitcnt vmcnt(2) lgkmcnt(0)
	v_mul_f64 v[20:21], v[12:13], v[202:203]
	v_fma_f64 v[74:75], v[10:11], v[200:201], -v[20:21]
	v_mul_f64 v[10:11], v[10:11], v[202:203]
	v_fma_f64 v[76:77], v[12:13], v[200:201], v[10:11]
	ds_read_b128 v[10:13], v114 offset:35840
	s_waitcnt vmcnt(1) lgkmcnt(0)
	v_mul_f64 v[20:21], v[12:13], v[206:207]
	v_fma_f64 v[78:79], v[10:11], v[204:205], -v[20:21]
	v_mul_f64 v[10:11], v[10:11], v[206:207]
	v_fma_f64 v[80:81], v[12:13], v[204:205], v[10:11]
	ds_read_b128 v[10:13], v114 offset:48640
	s_waitcnt vmcnt(0) lgkmcnt(0)
	v_mul_f64 v[18:19], v[12:13], v[210:211]
	v_fma_f64 v[82:83], v[10:11], v[208:209], -v[18:19]
	v_mul_f64 v[10:11], v[10:11], v[210:211]
	v_fma_f64 v[84:85], v[12:13], v[208:209], v[10:11]
	ds_read_b128 v[10:13], v114
	s_waitcnt lgkmcnt(0)
	v_add_f64 v[34:35], v[10:11], -v[34:35]
	v_add_f64 v[36:37], v[12:13], -v[36:37]
	v_fma_f64 v[18:19], v[10:11], 2.0, -v[34:35]
	v_fma_f64 v[20:21], v[12:13], 2.0, -v[36:37]
	;; [unrolled: 1-line block ×4, first 2 shown]
	v_add_f64 v[10:11], v[18:19], -v[10:11]
	v_add_f64 v[12:13], v[20:21], -v[12:13]
	v_fma_f64 v[14:15], v[18:19], 2.0, -v[10:11]
	v_fma_f64 v[16:17], v[20:21], 2.0, -v[12:13]
	v_mov_b32_e32 v18, 0x190
	v_cndmask_b32_e32 v18, 0, v18, vcc
	v_add_lshl_u32 v3, v3, v18, 4
	ds_read_b128 v[18:21], v114 offset:2560
	ds_read_b128 v[22:25], v114 offset:5120
	;; [unrolled: 1-line block ×4, first 2 shown]
	s_waitcnt lgkmcnt(0)
	s_barrier
	ds_write_b128 v3, v[14:17]
	v_add_f64 v[14:15], v[34:35], -v[88:89]
	v_add_f64 v[16:17], v[36:37], v[86:87]
	buffer_store_dword v3, off, s[40:43], 0 offset:792 ; 4-byte Folded Spill
	v_fma_f64 v[34:35], v[34:35], 2.0, -v[14:15]
	v_fma_f64 v[36:37], v[36:37], 2.0, -v[16:17]
	ds_write_b128 v3, v[34:37] offset:1600
	v_add_f64 v[34:35], v[18:19], -v[44:45]
	v_add_f64 v[36:37], v[20:21], -v[38:39]
	ds_write_b128 v3, v[10:13] offset:3200
	ds_write_b128 v3, v[14:17] offset:4800
	buffer_store_dword v1, off, s[40:43], 0 offset:796 ; 4-byte Folded Spill
	v_fma_f64 v[14:15], v[18:19], 2.0, -v[34:35]
	v_fma_f64 v[16:17], v[20:21], 2.0, -v[36:37]
	v_add_f64 v[18:19], v[40:41], -v[46:47]
	v_add_f64 v[20:21], v[42:43], -v[48:49]
	v_fma_f64 v[10:11], v[40:41], 2.0, -v[18:19]
	v_fma_f64 v[12:13], v[42:43], 2.0, -v[20:21]
	v_add_f64 v[10:11], v[14:15], -v[10:11]
	v_add_f64 v[12:13], v[16:17], -v[12:13]
	v_fma_f64 v[14:15], v[14:15], 2.0, -v[10:11]
	v_fma_f64 v[16:17], v[16:17], 2.0, -v[12:13]
	ds_write_b128 v1, v[14:17]
	v_add_f64 v[14:15], v[34:35], -v[20:21]
	v_add_f64 v[16:17], v[36:37], v[18:19]
	v_fma_f64 v[18:19], v[34:35], 2.0, -v[14:15]
	v_fma_f64 v[20:21], v[36:37], 2.0, -v[16:17]
	ds_write_b128 v1, v[18:21] offset:1600
	v_add_f64 v[18:19], v[22:23], -v[54:55]
	v_add_f64 v[20:21], v[24:25], -v[56:57]
	ds_write_b128 v1, v[10:13] offset:3200
	ds_write_b128 v1, v[14:17] offset:4800
	v_fma_f64 v[1:2], v[22:23], 2.0, -v[18:19]
	v_add_f64 v[22:23], v[50:51], -v[58:59]
	v_fma_f64 v[16:17], v[24:25], 2.0, -v[20:21]
	v_add_f64 v[24:25], v[52:53], -v[60:61]
	v_fma_f64 v[10:11], v[50:51], 2.0, -v[22:23]
	v_fma_f64 v[12:13], v[52:53], 2.0, -v[24:25]
	v_add_f64 v[10:11], v[1:2], -v[10:11]
	v_add_f64 v[12:13], v[16:17], -v[12:13]
	v_fma_f64 v[14:15], v[1:2], 2.0, -v[10:11]
	v_mad_legacy_u16 v1, v4, s38, v5
	v_fma_f64 v[16:17], v[16:17], 2.0, -v[12:13]
	v_lshlrev_b32_e32 v5, 4, v1
	v_add_f64 v[1:2], v[18:19], -v[24:25]
	v_add_f64 v[3:4], v[20:21], v[22:23]
	buffer_store_dword v5, off, s[40:43], 0 offset:780 ; 4-byte Folded Spill
	ds_write_b128 v5, v[14:17]
	v_fma_f64 v[14:15], v[18:19], 2.0, -v[1:2]
	v_fma_f64 v[16:17], v[20:21], 2.0, -v[3:4]
	v_add_f64 v[18:19], v[62:63], -v[70:71]
	v_add_f64 v[20:21], v[64:65], -v[72:73]
	ds_write_b128 v5, v[14:17] offset:1600
	v_add_f64 v[14:15], v[26:27], -v[66:67]
	v_add_f64 v[16:17], v[28:29], -v[68:69]
	ds_write_b128 v5, v[10:13] offset:3200
	ds_write_b128 v5, v[1:4] offset:4800
	v_fma_f64 v[1:2], v[62:63], 2.0, -v[18:19]
	v_fma_f64 v[3:4], v[64:65], 2.0, -v[20:21]
	v_mad_legacy_u16 v5, v6, s38, v7
	v_lshlrev_b32_e32 v5, 4, v5
	buffer_store_dword v5, off, s[40:43], 0 offset:784 ; 4-byte Folded Spill
	v_fma_f64 v[10:11], v[26:27], 2.0, -v[14:15]
	v_fma_f64 v[12:13], v[28:29], 2.0, -v[16:17]
	v_add_f64 v[1:2], v[10:11], -v[1:2]
	v_add_f64 v[3:4], v[12:13], -v[3:4]
	v_fma_f64 v[10:11], v[10:11], 2.0, -v[1:2]
	v_fma_f64 v[12:13], v[12:13], 2.0, -v[3:4]
	ds_write_b128 v5, v[10:13]
	v_add_f64 v[10:11], v[14:15], -v[20:21]
	v_add_f64 v[12:13], v[16:17], v[18:19]
	v_add_f64 v[18:19], v[74:75], -v[82:83]
	v_add_f64 v[20:21], v[76:77], -v[84:85]
	v_fma_f64 v[14:15], v[14:15], 2.0, -v[10:11]
	v_fma_f64 v[16:17], v[16:17], 2.0, -v[12:13]
	ds_write_b128 v5, v[14:17] offset:1600
	v_add_f64 v[14:15], v[30:31], -v[78:79]
	v_add_f64 v[16:17], v[32:33], -v[80:81]
	ds_write_b128 v5, v[1:4] offset:3200
	ds_write_b128 v5, v[10:13] offset:4800
	v_fma_f64 v[1:2], v[74:75], 2.0, -v[18:19]
	v_fma_f64 v[3:4], v[76:77], 2.0, -v[20:21]
	;; [unrolled: 1-line block ×4, first 2 shown]
	v_add_f64 v[1:2], v[5:6], -v[1:2]
	v_add_f64 v[3:4], v[12:13], -v[3:4]
	v_fma_f64 v[10:11], v[5:6], 2.0, -v[1:2]
	v_mad_legacy_u16 v5, v8, s38, v9
	v_fma_f64 v[12:13], v[12:13], 2.0, -v[3:4]
	v_lshlrev_b32_e32 v22, 4, v5
	v_add_f64 v[5:6], v[14:15], -v[20:21]
	v_add_f64 v[7:8], v[16:17], v[18:19]
	v_mad_u64_u32 v[29:30], s[38:39], v141, 48, s[10:11]
	buffer_store_dword v22, off, s[40:43], 0 offset:788 ; 4-byte Folded Spill
	s_movk_i32 s11, 0x1860
	ds_write_b128 v22, v[10:13]
	s_movk_i32 s38, 0x3660
	v_fma_f64 v[9:10], v[14:15], 2.0, -v[5:6]
	v_fma_f64 v[11:12], v[16:17], 2.0, -v[7:8]
	ds_write_b128 v22, v[9:12] offset:1600
	ds_write_b128 v22, v[1:4] offset:3200
	;; [unrolled: 1-line block ×3, first 2 shown]
	v_add_co_u32_e32 v1, vcc, s26, v29
	v_addc_co_u32_e32 v2, vcc, 0, v30, vcc
	s_waitcnt vmcnt(0) lgkmcnt(0)
	s_barrier
	global_load_dwordx4 v[216:219], v[1:2], off offset:2144
	ds_read_b128 v[1:4], v114 offset:12800
	ds_read_b128 v[25:28], v114 offset:43520
	buffer_store_dword v141, off, s[40:43], 0 offset:344 ; 4-byte Folded Spill
	s_waitcnt vmcnt(1) lgkmcnt(1)
	v_mul_f64 v[5:6], v[3:4], v[218:219]
	v_fma_f64 v[31:32], v[1:2], v[216:217], -v[5:6]
	v_add_co_u32_e32 v5, vcc, s11, v29
	v_addc_co_u32_e32 v6, vcc, 0, v30, vcc
	global_load_dwordx4 v[220:223], v[5:6], off offset:16
	global_load_dwordx4 v[212:215], v[5:6], off offset:32
	v_mul_f64 v[1:2], v[1:2], v[218:219]
	v_fma_f64 v[33:34], v[3:4], v[216:217], v[1:2]
	ds_read_b128 v[1:4], v114 offset:25600
	s_waitcnt vmcnt(1) lgkmcnt(0)
	v_mul_f64 v[7:8], v[3:4], v[222:223]
	v_fma_f64 v[35:36], v[1:2], v[220:221], -v[7:8]
	v_mul_f64 v[1:2], v[1:2], v[222:223]
	v_fma_f64 v[37:38], v[3:4], v[220:221], v[1:2]
	ds_read_b128 v[1:4], v114 offset:38400
	s_waitcnt vmcnt(0) lgkmcnt(0)
	v_mul_f64 v[5:6], v[3:4], v[214:215]
	v_fma_f64 v[39:40], v[1:2], v[212:213], -v[5:6]
	v_mul_f64 v[1:2], v[1:2], v[214:215]
	ds_read_b128 v[6:9], v114 offset:15360
	v_add_f64 v[77:78], v[31:32], -v[39:40]
	v_fma_f64 v[41:42], v[3:4], v[212:213], v[1:2]
	v_add_co_u32_e32 v1, vcc, s28, v29
	v_addc_co_u32_e32 v2, vcc, 0, v30, vcc
	global_load_dwordx4 v[224:227], v[1:2], off offset:1632
	v_add_f64 v[79:80], v[33:34], -v[41:42]
	s_waitcnt vmcnt(0) lgkmcnt(0)
	v_mul_f64 v[1:2], v[8:9], v[226:227]
	v_fma_f64 v[4:5], v[6:7], v[224:225], -v[1:2]
	v_mul_f64 v[1:2], v[6:7], v[226:227]
	v_fma_f64 v[6:7], v[8:9], v[224:225], v[1:2]
	v_add_co_u32_e32 v1, vcc, s38, v29
	v_addc_co_u32_e32 v2, vcc, 0, v30, vcc
	global_load_dwordx4 v[232:235], v[1:2], off offset:16
	global_load_dwordx4 v[228:231], v[1:2], off offset:32
	ds_read_b128 v[8:11], v114 offset:28160
	s_movk_i32 s38, 0x50
	v_cmp_gt_u16_e32 vcc, s38, v141
	s_waitcnt vmcnt(1) lgkmcnt(0)
	v_mul_f64 v[12:13], v[10:11], v[234:235]
	v_fma_f64 v[16:17], v[8:9], v[232:233], -v[12:13]
	v_mul_f64 v[8:9], v[8:9], v[234:235]
	v_fma_f64 v[18:19], v[10:11], v[232:233], v[8:9]
	ds_read_b128 v[8:11], v114 offset:40960
	s_waitcnt vmcnt(0) lgkmcnt(0)
	v_mul_f64 v[1:2], v[10:11], v[230:231]
	v_fma_f64 v[20:21], v[8:9], v[228:229], -v[1:2]
	v_mul_f64 v[1:2], v[8:9], v[230:231]
	v_add_f64 v[20:21], v[4:5], -v[20:21]
	v_fma_f64 v[22:23], v[10:11], v[228:229], v[1:2]
	v_add_u32_e32 v1, 0xffffffb0, v141
	v_cndmask_b32_e32 v24, v1, v0, vcc
	v_mul_i32_i24_e32 v0, 48, v24
	v_add_co_u32_e32 v12, vcc, s10, v0
	v_mul_hi_i32_i24_e32 v0, 48, v24
	v_addc_co_u32_e32 v13, vcc, v90, v0, vcc
	v_add_co_u32_e32 v0, vcc, s26, v12
	v_addc_co_u32_e32 v1, vcc, 0, v13, vcc
	global_load_dwordx4 v[244:247], v[0:1], off offset:2144
	v_add_co_u32_e32 v14, vcc, s11, v12
	v_addc_co_u32_e32 v15, vcc, 0, v13, vcc
	global_load_dwordx4 v[236:239], v[14:15], off offset:16
	global_load_dwordx4 v[240:243], v[14:15], off offset:32
	ds_read_b128 v[8:11], v114 offset:17920
	s_movk_i32 s11, 0x2760
	v_add_f64 v[22:23], v[6:7], -v[22:23]
	v_fma_f64 v[4:5], v[4:5], 2.0, -v[20:21]
	v_fma_f64 v[6:7], v[6:7], 2.0, -v[22:23]
	s_waitcnt vmcnt(2) lgkmcnt(0)
	v_mul_f64 v[2:3], v[8:9], v[246:247]
	v_mul_f64 v[0:1], v[10:11], v[246:247]
	s_waitcnt vmcnt(0)
	v_mul_f64 v[14:15], v[25:26], v[242:243]
	v_fma_f64 v[2:3], v[10:11], v[244:245], v[2:3]
	ds_read_b128 v[10:13], v114 offset:30720
	v_fma_f64 v[0:1], v[8:9], v[244:245], -v[0:1]
	s_waitcnt lgkmcnt(0)
	v_mul_f64 v[8:9], v[12:13], v[238:239]
	v_fma_f64 v[14:15], v[27:28], v[240:241], v[14:15]
	v_fma_f64 v[8:9], v[10:11], v[236:237], -v[8:9]
	v_mul_f64 v[10:11], v[10:11], v[238:239]
	v_add_f64 v[14:15], v[2:3], -v[14:15]
	v_fma_f64 v[10:11], v[12:13], v[236:237], v[10:11]
	v_mul_f64 v[12:13], v[27:28], v[242:243]
	v_fma_f64 v[2:3], v[2:3], 2.0, -v[14:15]
	v_fma_f64 v[12:13], v[25:26], v[240:241], -v[12:13]
	v_add_co_u32_e32 v25, vcc, s27, v29
	v_addc_co_u32_e32 v26, vcc, 0, v30, vcc
	global_load_dwordx4 v[248:251], v[25:26], off offset:1888
	ds_read_b128 v[25:28], v114 offset:20480
	v_add_f64 v[12:13], v[0:1], -v[12:13]
	v_fma_f64 v[0:1], v[0:1], 2.0, -v[12:13]
	s_waitcnt vmcnt(0) lgkmcnt(0)
	v_mul_f64 v[43:44], v[27:28], v[250:251]
	v_fma_f64 v[53:54], v[25:26], v[248:249], -v[43:44]
	v_add_co_u32_e32 v43, vcc, s11, v29
	v_addc_co_u32_e32 v44, vcc, 0, v30, vcc
	global_load_dwordx4 v[184:187], v[43:44], off offset:16
	global_load_dwordx4 v[180:183], v[43:44], off offset:32
	v_mul_f64 v[25:26], v[25:26], v[250:251]
	s_movk_i32 s11, 0x4560
	v_fma_f64 v[55:56], v[27:28], v[248:249], v[25:26]
	ds_read_b128 v[25:28], v114 offset:33280
	s_waitcnt vmcnt(1) lgkmcnt(0)
	v_mul_f64 v[45:46], v[27:28], v[186:187]
	v_fma_f64 v[57:58], v[25:26], v[184:185], -v[45:46]
	v_mul_f64 v[25:26], v[25:26], v[186:187]
	v_fma_f64 v[59:60], v[27:28], v[184:185], v[25:26]
	ds_read_b128 v[25:28], v114 offset:46080
	s_waitcnt vmcnt(0) lgkmcnt(0)
	v_mul_f64 v[43:44], v[27:28], v[182:183]
	v_fma_f64 v[61:62], v[25:26], v[180:181], -v[43:44]
	v_mul_f64 v[25:26], v[25:26], v[182:183]
	v_fma_f64 v[63:64], v[27:28], v[180:181], v[25:26]
	v_add_co_u32_e32 v25, vcc, s34, v29
	v_addc_co_u32_e32 v26, vcc, 0, v30, vcc
	global_load_dwordx4 v[252:255], v[25:26], off offset:1376
	v_add_co_u32_e32 v29, vcc, s11, v29
	v_addc_co_u32_e32 v30, vcc, 0, v30, vcc
	global_load_dwordx4 v[176:179], v[29:30], off offset:16
	global_load_dwordx4 v[172:175], v[29:30], off offset:32
	ds_read_b128 v[25:28], v114 offset:23040
	s_movk_i32 s11, 0x4f
	v_cmp_lt_u16_e32 vcc, s11, v141
	s_waitcnt vmcnt(2) lgkmcnt(0)
	v_mul_f64 v[43:44], v[27:28], v[254:255]
	v_fma_f64 v[65:66], v[25:26], v[252:253], -v[43:44]
	v_mul_f64 v[25:26], v[25:26], v[254:255]
	v_fma_f64 v[67:68], v[27:28], v[252:253], v[25:26]
	ds_read_b128 v[25:28], v114 offset:35840
	s_waitcnt vmcnt(1) lgkmcnt(0)
	v_mul_f64 v[43:44], v[27:28], v[178:179]
	v_fma_f64 v[69:70], v[25:26], v[176:177], -v[43:44]
	v_mul_f64 v[25:26], v[25:26], v[178:179]
	v_fma_f64 v[71:72], v[27:28], v[176:177], v[25:26]
	ds_read_b128 v[25:28], v114 offset:48640
	s_waitcnt vmcnt(0) lgkmcnt(0)
	v_mul_f64 v[29:30], v[27:28], v[174:175]
	v_fma_f64 v[73:74], v[25:26], v[172:173], -v[29:30]
	v_mul_f64 v[25:26], v[25:26], v[174:175]
	v_fma_f64 v[75:76], v[27:28], v[172:173], v[25:26]
	ds_read_b128 v[25:28], v114
	s_waitcnt lgkmcnt(0)
	v_add_f64 v[49:50], v[25:26], -v[35:36]
	v_add_f64 v[51:52], v[27:28], -v[37:38]
	v_fma_f64 v[29:30], v[25:26], 2.0, -v[49:50]
	v_fma_f64 v[35:36], v[27:28], 2.0, -v[51:52]
	;; [unrolled: 1-line block ×4, first 2 shown]
	v_add_f64 v[25:26], v[29:30], -v[25:26]
	v_add_f64 v[27:28], v[35:36], -v[27:28]
	v_fma_f64 v[29:30], v[29:30], 2.0, -v[25:26]
	v_fma_f64 v[31:32], v[35:36], 2.0, -v[27:28]
	ds_read_b128 v[33:36], v114 offset:2560
	ds_read_b128 v[37:40], v114 offset:5120
	;; [unrolled: 1-line block ×4, first 2 shown]
	s_waitcnt lgkmcnt(0)
	s_barrier
	v_add_f64 v[8:9], v[37:38], -v[8:9]
	v_add_f64 v[10:11], v[39:40], -v[10:11]
	ds_write_b128 v114, v[29:32]
	v_add_f64 v[29:30], v[49:50], -v[79:80]
	v_add_f64 v[31:32], v[51:52], v[77:78]
	v_fma_f64 v[49:50], v[49:50], 2.0, -v[29:30]
	v_fma_f64 v[51:52], v[51:52], 2.0, -v[31:32]
	ds_write_b128 v114, v[49:52] offset:6400
	ds_write_b128 v114, v[25:28] offset:12800
	;; [unrolled: 1-line block ×3, first 2 shown]
	v_add_f64 v[25:26], v[33:34], -v[16:17]
	v_add_f64 v[27:28], v[35:36], -v[18:19]
	v_fma_f64 v[16:17], v[33:34], 2.0, -v[25:26]
	v_fma_f64 v[18:19], v[35:36], 2.0, -v[27:28]
	v_add_f64 v[4:5], v[16:17], -v[4:5]
	v_add_f64 v[6:7], v[18:19], -v[6:7]
	v_fma_f64 v[16:17], v[16:17], 2.0, -v[4:5]
	v_fma_f64 v[18:19], v[18:19], 2.0, -v[6:7]
	ds_write_b128 v114, v[16:19] offset:2560
	v_add_f64 v[16:17], v[25:26], -v[22:23]
	v_add_f64 v[18:19], v[27:28], v[20:21]
	v_fma_f64 v[20:21], v[25:26], 2.0, -v[16:17]
	v_fma_f64 v[22:23], v[27:28], 2.0, -v[18:19]
	ds_write_b128 v114, v[20:23] offset:8960
	ds_write_b128 v114, v[4:7] offset:15360
	;; [unrolled: 1-line block ×3, first 2 shown]
	v_fma_f64 v[4:5], v[37:38], 2.0, -v[8:9]
	v_fma_f64 v[6:7], v[39:40], 2.0, -v[10:11]
	v_mov_b32_e32 v16, 0x640
	v_cndmask_b32_e32 v16, 0, v16, vcc
	v_add_lshl_u32 v16, v24, v16, 4
	buffer_store_dword v16, off, s[40:43], 0 offset:800 ; 4-byte Folded Spill
	v_add_f64 v[0:1], v[4:5], -v[0:1]
	v_add_f64 v[2:3], v[6:7], -v[2:3]
	v_fma_f64 v[4:5], v[4:5], 2.0, -v[0:1]
	v_fma_f64 v[6:7], v[6:7], 2.0, -v[2:3]
	ds_write_b128 v16, v[4:7]
	v_add_f64 v[4:5], v[8:9], -v[14:15]
	v_add_f64 v[6:7], v[10:11], v[12:13]
	v_add_f64 v[12:13], v[53:54], -v[61:62]
	v_add_f64 v[14:15], v[55:56], -v[63:64]
	v_fma_f64 v[8:9], v[8:9], 2.0, -v[4:5]
	v_fma_f64 v[10:11], v[10:11], 2.0, -v[6:7]
	ds_write_b128 v16, v[8:11] offset:6400
	v_add_f64 v[8:9], v[41:42], -v[57:58]
	v_add_f64 v[10:11], v[43:44], -v[59:60]
	ds_write_b128 v16, v[0:3] offset:12800
	ds_write_b128 v16, v[4:7] offset:19200
	v_fma_f64 v[0:1], v[53:54], 2.0, -v[12:13]
	v_fma_f64 v[2:3], v[55:56], 2.0, -v[14:15]
	v_add_co_u32_e32 v16, vcc, s10, v114
	v_addc_co_u32_e32 v17, vcc, 0, v90, vcc
	v_fma_f64 v[4:5], v[41:42], 2.0, -v[8:9]
	v_fma_f64 v[6:7], v[43:44], 2.0, -v[10:11]
	v_add_f64 v[0:1], v[4:5], -v[0:1]
	v_add_f64 v[2:3], v[6:7], -v[2:3]
	v_fma_f64 v[4:5], v[4:5], 2.0, -v[0:1]
	v_fma_f64 v[6:7], v[6:7], 2.0, -v[2:3]
	ds_write_b128 v114, v[4:7] offset:26880
	v_add_f64 v[4:5], v[8:9], -v[14:15]
	v_add_f64 v[6:7], v[10:11], v[12:13]
	v_add_f64 v[12:13], v[65:66], -v[73:74]
	v_add_f64 v[14:15], v[67:68], -v[75:76]
	v_fma_f64 v[8:9], v[8:9], 2.0, -v[4:5]
	v_fma_f64 v[10:11], v[10:11], 2.0, -v[6:7]
	ds_write_b128 v114, v[8:11] offset:33280
	ds_write_b128 v114, v[0:3] offset:39680
	;; [unrolled: 1-line block ×3, first 2 shown]
	v_add_f64 v[8:9], v[45:46], -v[69:70]
	v_add_f64 v[10:11], v[47:48], -v[71:72]
	v_fma_f64 v[0:1], v[65:66], 2.0, -v[12:13]
	v_fma_f64 v[2:3], v[67:68], 2.0, -v[14:15]
	;; [unrolled: 1-line block ×4, first 2 shown]
	v_add_f64 v[0:1], v[4:5], -v[0:1]
	v_add_f64 v[2:3], v[6:7], -v[2:3]
	v_fma_f64 v[4:5], v[4:5], 2.0, -v[0:1]
	v_fma_f64 v[6:7], v[6:7], 2.0, -v[2:3]
	ds_write_b128 v114, v[4:7] offset:29440
	v_add_f64 v[4:5], v[8:9], -v[14:15]
	v_add_f64 v[6:7], v[10:11], v[12:13]
	v_fma_f64 v[8:9], v[8:9], 2.0, -v[4:5]
	v_fma_f64 v[10:11], v[10:11], 2.0, -v[6:7]
	ds_write_b128 v114, v[8:11] offset:35840
	ds_write_b128 v114, v[0:3] offset:42240
	;; [unrolled: 1-line block ×3, first 2 shown]
	v_add_co_u32_e32 v4, vcc, s29, v16
	v_addc_co_u32_e32 v5, vcc, 0, v17, vcc
	s_waitcnt vmcnt(0) lgkmcnt(0)
	s_barrier
	global_load_dwordx4 v[168:171], v[4:5], off offset:864
	global_load_dwordx4 v[164:167], v[4:5], off offset:3424
	ds_read_b128 v[0:3], v114 offset:25600
	ds_read_b128 v[24:27], v114 offset:7680
	;; [unrolled: 1-line block ×6, first 2 shown]
	s_waitcnt vmcnt(1) lgkmcnt(5)
	v_mul_f64 v[6:7], v[2:3], v[170:171]
	v_fma_f64 v[6:7], v[0:1], v[168:169], -v[6:7]
	v_mul_f64 v[0:1], v[0:1], v[170:171]
	v_fma_f64 v[8:9], v[2:3], v[168:169], v[0:1]
	ds_read_b128 v[0:3], v114 offset:28160
	s_waitcnt vmcnt(0) lgkmcnt(0)
	v_mul_f64 v[4:5], v[2:3], v[166:167]
	v_fma_f64 v[4:5], v[0:1], v[164:165], -v[4:5]
	v_mul_f64 v[0:1], v[0:1], v[166:167]
	v_fma_f64 v[14:15], v[2:3], v[164:165], v[0:1]
	v_add_co_u32_e32 v0, vcc, s30, v16
	v_addc_co_u32_e32 v1, vcc, 0, v17, vcc
	global_load_dwordx4 v[160:163], v[0:1], off offset:1888
	ds_read_b128 v[0:3], v114 offset:30720
	s_waitcnt vmcnt(0) lgkmcnt(0)
	v_mul_f64 v[10:11], v[2:3], v[162:163]
	v_fma_f64 v[20:21], v[0:1], v[160:161], -v[10:11]
	v_add_co_u32_e32 v10, vcc, s31, v16
	v_addc_co_u32_e32 v11, vcc, 0, v17, vcc
	global_load_dwordx4 v[151:154], v[10:11], off offset:352
	global_load_dwordx4 v[156:159], v[10:11], off offset:2912
	v_mul_f64 v[0:1], v[0:1], v[162:163]
	v_fma_f64 v[22:23], v[2:3], v[160:161], v[0:1]
	ds_read_b128 v[0:3], v114 offset:33280
	s_waitcnt vmcnt(1) lgkmcnt(0)
	v_mul_f64 v[12:13], v[2:3], v[153:154]
	v_fma_f64 v[28:29], v[0:1], v[151:152], -v[12:13]
	v_mul_f64 v[0:1], v[0:1], v[153:154]
	v_add_f64 v[28:29], v[24:25], -v[28:29]
	v_fma_f64 v[30:31], v[2:3], v[151:152], v[0:1]
	ds_read_b128 v[0:3], v114 offset:35840
	s_waitcnt vmcnt(0) lgkmcnt(0)
	v_mul_f64 v[10:11], v[2:3], v[158:159]
	v_fma_f64 v[24:25], v[24:25], 2.0, -v[28:29]
	v_add_f64 v[30:31], v[26:27], -v[30:31]
	v_fma_f64 v[36:37], v[0:1], v[156:157], -v[10:11]
	v_add_co_u32_e32 v10, vcc, s36, v16
	v_addc_co_u32_e32 v11, vcc, 0, v17, vcc
	global_load_dwordx4 v[147:150], v[10:11], off offset:1376
	global_load_dwordx4 v[143:146], v[10:11], off offset:3936
	v_mul_f64 v[0:1], v[0:1], v[158:159]
	v_add_f64 v[36:37], v[32:33], -v[36:37]
	v_fma_f64 v[26:27], v[26:27], 2.0, -v[30:31]
	v_fma_f64 v[38:39], v[2:3], v[156:157], v[0:1]
	ds_read_b128 v[0:3], v114 offset:38400
	v_fma_f64 v[32:33], v[32:33], 2.0, -v[36:37]
	v_add_f64 v[38:39], v[34:35], -v[38:39]
	v_fma_f64 v[34:35], v[34:35], 2.0, -v[38:39]
	s_waitcnt vmcnt(1) lgkmcnt(0)
	v_mul_f64 v[12:13], v[2:3], v[149:150]
	v_fma_f64 v[44:45], v[0:1], v[147:148], -v[12:13]
	v_mul_f64 v[0:1], v[0:1], v[149:150]
	v_add_f64 v[44:45], v[40:41], -v[44:45]
	v_fma_f64 v[46:47], v[2:3], v[147:148], v[0:1]
	ds_read_b128 v[0:3], v114 offset:40960
	s_waitcnt vmcnt(0) lgkmcnt(0)
	v_mul_f64 v[10:11], v[2:3], v[145:146]
	v_fma_f64 v[40:41], v[40:41], 2.0, -v[44:45]
	v_add_f64 v[46:47], v[42:43], -v[46:47]
	v_fma_f64 v[52:53], v[0:1], v[143:144], -v[10:11]
	v_mul_f64 v[0:1], v[0:1], v[145:146]
	v_fma_f64 v[42:43], v[42:43], 2.0, -v[46:47]
	v_add_f64 v[52:53], v[48:49], -v[52:53]
	v_fma_f64 v[54:55], v[2:3], v[143:144], v[0:1]
	v_add_co_u32_e32 v0, vcc, s37, v16
	v_addc_co_u32_e32 v1, vcc, 0, v17, vcc
	global_load_dwordx4 v[135:138], v[0:1], off offset:2400
	ds_read_b128 v[0:3], v114 offset:43520
	v_fma_f64 v[48:49], v[48:49], 2.0, -v[52:53]
	v_add_f64 v[54:55], v[50:51], -v[54:55]
	v_fma_f64 v[50:51], v[50:51], 2.0, -v[54:55]
	s_waitcnt vmcnt(0) lgkmcnt(0)
	v_mul_f64 v[10:11], v[2:3], v[137:138]
	v_fma_f64 v[72:73], v[0:1], v[135:136], -v[10:11]
	v_add_co_u32_e32 v10, vcc, s33, v16
	v_addc_co_u32_e32 v11, vcc, 0, v17, vcc
	global_load_dwordx4 v[139:142], v[10:11], off offset:864
	global_load_dwordx4 v[121:124], v[10:11], off offset:3424
	v_mul_f64 v[0:1], v[0:1], v[137:138]
	ds_read_b128 v[16:19], v114 offset:5120
	s_waitcnt lgkmcnt(0)
	v_add_f64 v[20:21], v[16:17], -v[20:21]
	v_add_f64 v[22:23], v[18:19], -v[22:23]
	v_fma_f64 v[74:75], v[2:3], v[135:136], v[0:1]
	ds_read_b128 v[0:3], v114 offset:46080
	v_fma_f64 v[60:61], v[16:17], 2.0, -v[20:21]
	v_fma_f64 v[62:63], v[18:19], 2.0, -v[22:23]
	s_waitcnt vmcnt(1) lgkmcnt(0)
	v_mul_f64 v[12:13], v[2:3], v[141:142]
	v_fma_f64 v[76:77], v[0:1], v[139:140], -v[12:13]
	v_mul_f64 v[0:1], v[0:1], v[141:142]
	v_fma_f64 v[103:104], v[2:3], v[139:140], v[0:1]
	ds_read_b128 v[0:3], v114 offset:48640
	s_waitcnt vmcnt(0) lgkmcnt(0)
	v_mul_f64 v[10:11], v[2:3], v[123:124]
	v_fma_f64 v[105:106], v[0:1], v[121:122], -v[10:11]
	v_mul_f64 v[0:1], v[0:1], v[123:124]
	v_fma_f64 v[107:108], v[2:3], v[121:122], v[0:1]
	ds_read_b128 v[0:3], v114
	s_waitcnt lgkmcnt(0)
	v_add_f64 v[56:57], v[0:1], -v[6:7]
	v_add_f64 v[58:59], v[2:3], -v[8:9]
	ds_read_b128 v[8:11], v114 offset:2560
	v_fma_f64 v[68:69], v[0:1], 2.0, -v[56:57]
	v_fma_f64 v[70:71], v[2:3], 2.0, -v[58:59]
	ds_read_b128 v[0:3], v114 offset:20480
	s_waitcnt lgkmcnt(1)
	v_add_f64 v[12:13], v[8:9], -v[4:5]
	v_add_f64 v[14:15], v[10:11], -v[14:15]
	s_waitcnt lgkmcnt(0)
	v_add_f64 v[131:132], v[0:1], -v[76:77]
	v_add_f64 v[133:134], v[2:3], -v[103:104]
	v_fma_f64 v[64:65], v[8:9], 2.0, -v[12:13]
	v_fma_f64 v[66:67], v[10:11], 2.0, -v[14:15]
	v_add_f64 v[8:9], v[110:111], -v[72:73]
	v_add_f64 v[10:11], v[112:113], -v[74:75]
	v_fma_f64 v[16:17], v[0:1], 2.0, -v[131:132]
	v_fma_f64 v[18:19], v[2:3], 2.0, -v[133:134]
	ds_read_b128 v[0:3], v114 offset:23040
	v_fma_f64 v[110:111], v[110:111], 2.0, -v[8:9]
	s_waitcnt lgkmcnt(0)
	v_add_f64 v[4:5], v[0:1], -v[105:106]
	v_add_f64 v[6:7], v[2:3], -v[107:108]
	v_fma_f64 v[112:113], v[112:113], 2.0, -v[10:11]
	v_fma_f64 v[0:1], v[0:1], 2.0, -v[4:5]
	;; [unrolled: 1-line block ×3, first 2 shown]
	ds_write_b128 v114, v[68:71]
	ds_write_b128 v114, v[56:59] offset:25600
	ds_write_b128 v114, v[64:67] offset:2560
	;; [unrolled: 1-line block ×19, first 2 shown]
	s_waitcnt lgkmcnt(0)
	s_barrier
	global_load_dwordx4 v[0:3], v114, s[24:25]
	ds_read_b128 v[4:7], v114
	ds_read_b128 v[106:109], v114 offset:33280
	ds_read_b128 v[63:66], v114 offset:23040
	;; [unrolled: 1-line block ×3, first 2 shown]
	s_waitcnt vmcnt(0) lgkmcnt(3)
	v_mul_f64 v[8:9], v[6:7], v[2:3]
	v_mul_f64 v[2:3], v[4:5], v[2:3]
	v_fma_f64 v[75:76], v[4:5], v[0:1], -v[8:9]
	v_fma_f64 v[77:78], v[6:7], v[0:1], v[2:3]
	v_add_co_u32_e32 v0, vcc, s24, v114
	v_mov_b32_e32 v1, s25
	v_addc_co_u32_e32 v111, vcc, 0, v1, vcc
	v_add_co_u32_e32 v11, vcc, s26, v0
	v_addc_co_u32_e32 v12, vcc, 0, v111, vcc
	global_load_dwordx4 v[1:4], v[11:12], off offset:1024
	ds_read_b128 v[5:8], v114 offset:5120
	s_waitcnt vmcnt(0) lgkmcnt(0)
	v_mul_f64 v[9:10], v[7:8], v[3:4]
	v_mul_f64 v[3:4], v[5:6], v[3:4]
	v_fma_f64 v[71:72], v[5:6], v[1:2], -v[9:10]
	v_fma_f64 v[73:74], v[7:8], v[1:2], v[3:4]
	v_add_co_u32_e32 v1, vcc, s27, v0
	v_addc_co_u32_e32 v2, vcc, 0, v111, vcc
	global_load_dwordx4 v[1:4], v[1:2], off offset:2048
	ds_read_b128 v[5:8], v114 offset:10240
	v_add_co_u32_e32 v13, vcc, s28, v0
	v_addc_co_u32_e32 v14, vcc, 0, v111, vcc
	v_add_co_u32_e32 v56, vcc, s29, v0
	v_addc_co_u32_e32 v57, vcc, 0, v111, vcc
	s_waitcnt vmcnt(0) lgkmcnt(0)
	v_mul_f64 v[9:10], v[7:8], v[3:4]
	v_mul_f64 v[3:4], v[5:6], v[3:4]
	v_fma_f64 v[52:53], v[5:6], v[1:2], -v[9:10]
	v_fma_f64 v[54:55], v[7:8], v[1:2], v[3:4]
	global_load_dwordx4 v[1:4], v[13:14], off offset:3072
	ds_read_b128 v[5:8], v114 offset:15360
	s_waitcnt vmcnt(0) lgkmcnt(0)
	v_mul_f64 v[9:10], v[7:8], v[3:4]
	v_mul_f64 v[3:4], v[5:6], v[3:4]
	v_fma_f64 v[48:49], v[5:6], v[1:2], -v[9:10]
	v_fma_f64 v[50:51], v[7:8], v[1:2], v[3:4]
	buffer_load_dword v1, off, s[40:43], 0 offset:336 ; 4-byte Folded Reload
	ds_read_b128 v[5:8], v114 offset:20480
	s_waitcnt vmcnt(0)
	global_load_dwordx4 v[1:4], v1, s[24:25]
	s_waitcnt vmcnt(0) lgkmcnt(0)
	v_mul_f64 v[9:10], v[7:8], v[3:4]
	v_mul_f64 v[3:4], v[5:6], v[3:4]
	v_fma_f64 v[44:45], v[5:6], v[1:2], -v[9:10]
	v_fma_f64 v[46:47], v[7:8], v[1:2], v[3:4]
	global_load_dwordx4 v[1:4], v[56:57], off offset:1024
	ds_read_b128 v[5:8], v114 offset:25600
	s_waitcnt vmcnt(0) lgkmcnt(0)
	v_mul_f64 v[9:10], v[7:8], v[3:4]
	v_mul_f64 v[3:4], v[5:6], v[3:4]
	v_fma_f64 v[40:41], v[5:6], v[1:2], -v[9:10]
	v_fma_f64 v[42:43], v[7:8], v[1:2], v[3:4]
	v_add_co_u32_e32 v1, vcc, s30, v0
	v_addc_co_u32_e32 v2, vcc, 0, v111, vcc
	global_load_dwordx4 v[1:4], v[1:2], off offset:2048
	ds_read_b128 v[5:8], v114 offset:30720
	v_add_co_u32_e32 v103, vcc, s31, v0
	v_addc_co_u32_e32 v104, vcc, 0, v111, vcc
	v_add_co_u32_e32 v112, vcc, s33, v0
	v_addc_co_u32_e32 v113, vcc, 0, v111, vcc
	s_waitcnt vmcnt(0) lgkmcnt(0)
	v_mul_f64 v[9:10], v[7:8], v[3:4]
	v_mul_f64 v[3:4], v[5:6], v[3:4]
	v_fma_f64 v[36:37], v[5:6], v[1:2], -v[9:10]
	v_fma_f64 v[38:39], v[7:8], v[1:2], v[3:4]
	global_load_dwordx4 v[1:4], v[103:104], off offset:3072
	ds_read_b128 v[5:8], v114 offset:35840
	s_waitcnt vmcnt(0) lgkmcnt(0)
	v_mul_f64 v[9:10], v[7:8], v[3:4]
	v_mul_f64 v[3:4], v[5:6], v[3:4]
	v_fma_f64 v[32:33], v[5:6], v[1:2], -v[9:10]
	v_fma_f64 v[34:35], v[7:8], v[1:2], v[3:4]
	buffer_load_dword v1, off, s[40:43], 0 offset:340 ; 4-byte Folded Reload
	ds_read_b128 v[5:8], v114 offset:40960
	s_waitcnt vmcnt(0)
	global_load_dwordx4 v[1:4], v1, s[24:25]
	s_waitcnt vmcnt(0) lgkmcnt(0)
	v_mul_f64 v[9:10], v[7:8], v[3:4]
	v_mul_f64 v[3:4], v[5:6], v[3:4]
	v_fma_f64 v[28:29], v[5:6], v[1:2], -v[9:10]
	v_fma_f64 v[30:31], v[7:8], v[1:2], v[3:4]
	global_load_dwordx4 v[3:6], v[112:113], off offset:1024
	ds_read_b128 v[7:10], v114 offset:46080
	s_waitcnt vmcnt(0) lgkmcnt(0)
	v_mul_f64 v[1:2], v[9:10], v[5:6]
	v_mul_f64 v[5:6], v[7:8], v[5:6]
	v_fma_f64 v[24:25], v[7:8], v[3:4], -v[1:2]
	v_fma_f64 v[26:27], v[9:10], v[3:4], v[5:6]
	global_load_dwordx4 v[3:6], v114, s[24:25] offset:2560
	ds_read_b128 v[7:10], v114 offset:2560
	s_waitcnt vmcnt(0) lgkmcnt(0)
	v_mul_f64 v[1:2], v[9:10], v[5:6]
	v_mul_f64 v[5:6], v[7:8], v[5:6]
	v_fma_f64 v[20:21], v[7:8], v[3:4], -v[1:2]
	v_fma_f64 v[22:23], v[9:10], v[3:4], v[5:6]
	global_load_dwordx4 v[3:6], v[11:12], off offset:3584
	ds_read_b128 v[7:10], v114 offset:7680
	s_waitcnt vmcnt(0) lgkmcnt(0)
	v_mul_f64 v[1:2], v[9:10], v[5:6]
	v_mul_f64 v[5:6], v[7:8], v[5:6]
	v_fma_f64 v[16:17], v[7:8], v[3:4], -v[1:2]
	v_fma_f64 v[18:19], v[9:10], v[3:4], v[5:6]
	global_load_dwordx4 v[3:6], v[13:14], off offset:512
	ds_read_b128 v[7:10], v114 offset:12800
	s_waitcnt vmcnt(0) lgkmcnt(0)
	v_mul_f64 v[1:2], v[9:10], v[5:6]
	v_mul_f64 v[5:6], v[7:8], v[5:6]
	v_fma_f64 v[12:13], v[7:8], v[3:4], -v[1:2]
	v_add_co_u32_e32 v1, vcc, s34, v0
	v_addc_co_u32_e32 v2, vcc, 0, v111, vcc
	global_load_dwordx4 v[59:62], v[1:2], off offset:1536
	v_fma_f64 v[14:15], v[9:10], v[3:4], v[5:6]
	ds_read_b128 v[3:6], v114 offset:17920
	s_waitcnt vmcnt(0) lgkmcnt(0)
	v_mul_f64 v[1:2], v[5:6], v[61:62]
	v_mul_f64 v[10:11], v[3:4], v[61:62]
	v_fma_f64 v[8:9], v[3:4], v[59:60], -v[1:2]
	v_add_co_u32_e32 v1, vcc, s35, v0
	v_addc_co_u32_e32 v2, vcc, 0, v111, vcc
	v_fma_f64 v[10:11], v[5:6], v[59:60], v[10:11]
	global_load_dwordx4 v[59:62], v[1:2], off offset:2560
	s_waitcnt vmcnt(0)
	v_mul_f64 v[1:2], v[65:66], v[61:62]
	v_mul_f64 v[3:4], v[63:64], v[61:62]
	v_fma_f64 v[61:62], v[63:64], v[59:60], -v[1:2]
	v_fma_f64 v[63:64], v[65:66], v[59:60], v[3:4]
	global_load_dwordx4 v[65:68], v[56:57], off offset:3584
	s_waitcnt vmcnt(0)
	v_mul_f64 v[1:2], v[133:134], v[67:68]
	v_mul_f64 v[3:4], v[131:132], v[67:68]
	v_fma_f64 v[67:68], v[131:132], v[65:66], -v[1:2]
	;; [unrolled: 6-line block ×3, first 2 shown]
	v_add_co_u32_e32 v1, vcc, s36, v0
	v_addc_co_u32_e32 v2, vcc, 0, v111, vcc
	v_fma_f64 v[105:106], v[108:109], v[131:132], v[3:4]
	global_load_dwordx4 v[107:110], v[1:2], off offset:1536
	ds_read_b128 v[131:134], v114 offset:38400
	v_add_co_u32_e32 v0, vcc, s37, v0
	s_waitcnt vmcnt(0) lgkmcnt(0)
	v_mul_f64 v[1:2], v[133:134], v[109:110]
	v_mul_f64 v[3:4], v[131:132], v[109:110]
	v_fma_f64 v[131:132], v[131:132], v[107:108], -v[1:2]
	v_addc_co_u32_e32 v1, vcc, 0, v111, vcc
	v_fma_f64 v[133:134], v[133:134], v[107:108], v[3:4]
	global_load_dwordx4 v[107:110], v[0:1], off offset:2560
	ds_read_b128 v[0:3], v114 offset:43520
	s_waitcnt vmcnt(0) lgkmcnt(0)
	v_mul_f64 v[4:5], v[2:3], v[109:110]
	v_mul_f64 v[6:7], v[0:1], v[109:110]
	v_fma_f64 v[4:5], v[0:1], v[107:108], -v[4:5]
	v_fma_f64 v[6:7], v[2:3], v[107:108], v[6:7]
	global_load_dwordx4 v[107:110], v[112:113], off offset:3584
	ds_read_b128 v[0:3], v114 offset:48640
	s_waitcnt vmcnt(0) lgkmcnt(0)
	v_mul_f64 v[56:57], v[2:3], v[109:110]
	v_mul_f64 v[58:59], v[0:1], v[109:110]
	v_fma_f64 v[0:1], v[0:1], v[107:108], -v[56:57]
	v_fma_f64 v[2:3], v[2:3], v[107:108], v[58:59]
	ds_write_b128 v114, v[75:78]
	ds_write_b128 v114, v[71:74] offset:5120
	ds_write_b128 v114, v[52:55] offset:10240
	;; [unrolled: 1-line block ×19, first 2 shown]
	s_waitcnt lgkmcnt(0)
	s_barrier
	ds_read_b128 v[0:3], v114
	ds_read_b128 v[4:7], v114 offset:10240
	ds_read_b128 v[8:11], v114 offset:20480
	s_waitcnt lgkmcnt(1)
	v_add_f64 v[12:13], v[0:1], v[4:5]
	s_waitcnt lgkmcnt(0)
	v_add_f64 v[22:23], v[4:5], -v[8:9]
	v_add_f64 v[24:25], v[8:9], -v[4:5]
	;; [unrolled: 1-line block ×4, first 2 shown]
	v_add_f64 v[16:17], v[12:13], v[8:9]
	v_add_f64 v[12:13], v[2:3], v[6:7]
	;; [unrolled: 1-line block ×3, first 2 shown]
	ds_read_b128 v[12:15], v114 offset:30720
	s_waitcnt lgkmcnt(0)
	v_add_f64 v[20:21], v[8:9], v[12:13]
	v_add_f64 v[32:33], v[10:11], -v[14:15]
	v_add_f64 v[26:27], v[10:11], v[14:15]
	v_add_f64 v[34:35], v[8:9], -v[12:13]
	ds_read_b128 v[8:11], v114 offset:40960
	s_waitcnt lgkmcnt(0)
	v_add_f64 v[36:37], v[6:7], -v[10:11]
	v_add_f64 v[38:39], v[4:5], v[8:9]
	v_add_f64 v[40:41], v[4:5], -v[8:9]
	v_add_f64 v[42:43], v[6:7], v[10:11]
	v_add_f64 v[4:5], v[16:17], v[12:13]
	;; [unrolled: 1-line block ×3, first 2 shown]
	v_add_f64 v[44:45], v[8:9], -v[12:13]
	v_add_f64 v[46:47], v[12:13], -v[8:9]
	;; [unrolled: 1-line block ×4, first 2 shown]
	v_fma_f64 v[109:110], v[26:27], -0.5, v[2:3]
	v_fma_f64 v[26:27], v[42:43], -0.5, v[2:3]
	v_add_f64 v[52:53], v[4:5], v[8:9]
	v_add_f64 v[54:55], v[6:7], v[10:11]
	ds_read_b128 v[4:7], v114 offset:5120
	ds_read_b128 v[8:11], v114 offset:15360
	;; [unrolled: 1-line block ×3, first 2 shown]
	v_fma_f64 v[38:39], v[38:39], -0.5, v[0:1]
	v_add_f64 v[48:49], v[28:29], v[48:49]
	v_add_f64 v[28:29], v[30:31], v[50:51]
	s_waitcnt lgkmcnt(1)
	v_add_f64 v[16:17], v[4:5], v[8:9]
	s_waitcnt lgkmcnt(0)
	v_add_f64 v[64:65], v[8:9], -v[12:13]
	v_add_f64 v[66:67], v[12:13], -v[8:9]
	;; [unrolled: 1-line block ×4, first 2 shown]
	v_add_f64 v[44:45], v[22:23], v[44:45]
	v_add_f64 v[24:25], v[24:25], v[46:47]
	;; [unrolled: 1-line block ×5, first 2 shown]
	ds_read_b128 v[16:19], v114 offset:35840
	s_waitcnt lgkmcnt(0)
	v_add_f64 v[68:69], v[14:15], v[18:19]
	v_add_f64 v[60:61], v[12:13], v[16:17]
	v_add_f64 v[62:63], v[14:15], -v[18:19]
	v_add_f64 v[70:71], v[12:13], -v[16:17]
	ds_read_b128 v[12:15], v114 offset:46080
	v_fma_f64 v[68:69], v[68:69], -0.5, v[6:7]
	s_waitcnt lgkmcnt(0)
	v_add_f64 v[76:77], v[10:11], -v[14:15]
	v_add_f64 v[103:104], v[8:9], v[12:13]
	v_add_f64 v[105:106], v[8:9], -v[12:13]
	v_add_f64 v[8:9], v[10:11], v[14:15]
	v_add_f64 v[10:11], v[56:57], v[16:17]
	;; [unrolled: 1-line block ×3, first 2 shown]
	v_add_f64 v[58:59], v[12:13], -v[16:17]
	v_add_f64 v[16:17], v[16:17], -v[12:13]
	;; [unrolled: 1-line block ×3, first 2 shown]
	v_fma_f64 v[42:43], v[60:61], -0.5, v[4:5]
	v_fma_f64 v[60:61], v[103:104], -0.5, v[4:5]
	;; [unrolled: 1-line block ×3, first 2 shown]
	v_add_f64 v[10:11], v[10:11], v[12:13]
	v_add_f64 v[12:13], v[56:57], v[14:15]
	v_fma_f64 v[8:9], v[105:106], s[6:7], v[68:69]
	v_fma_f64 v[56:57], v[20:21], -0.5, v[0:1]
	v_add_f64 v[18:19], v[18:19], -v[14:15]
	v_add_f64 v[30:31], v[66:67], v[16:17]
	v_fma_f64 v[16:17], v[70:71], s[14:15], v[103:104]
	v_add_f64 v[0:1], v[52:53], v[10:11]
	v_add_f64 v[2:3], v[54:55], v[12:13]
	v_add_f64 v[4:5], v[52:53], -v[10:11]
	v_add_f64 v[6:7], v[54:55], -v[12:13]
	v_add_f64 v[54:55], v[72:73], v[107:108]
	v_fma_f64 v[8:9], v[70:71], s[8:9], v[8:9]
	v_fma_f64 v[10:11], v[76:77], s[14:15], v[42:43]
	v_add_f64 v[52:53], v[64:65], v[58:59]
	v_add_f64 v[46:47], v[74:75], v[18:19]
	v_fma_f64 v[16:17], v[105:106], s[8:9], v[16:17]
	v_fma_f64 v[18:19], v[62:63], s[6:7], v[60:61]
	;; [unrolled: 1-line block ×7, first 2 shown]
	v_mul_f64 v[12:13], v[8:9], s[16:17]
	v_fma_f64 v[10:11], v[52:53], s[12:13], v[10:11]
	v_fma_f64 v[18:19], v[30:31], s[12:13], v[18:19]
	;; [unrolled: 1-line block ×3, first 2 shown]
	v_mul_f64 v[10:11], v[10:11], s[8:9]
	v_fma_f64 v[12:13], v[40:41], s[6:7], v[109:110]
	v_fma_f64 v[10:11], v[8:9], s[22:23], v[10:11]
	;; [unrolled: 1-line block ×7, first 2 shown]
	v_add_f64 v[14:15], v[22:23], v[10:11]
	v_add_f64 v[10:11], v[22:23], -v[10:11]
	v_add_f64 v[12:13], v[8:9], v[20:21]
	v_add_f64 v[8:9], v[8:9], -v[20:21]
	v_mul_f64 v[20:21], v[16:17], s[14:15]
	v_mul_f64 v[16:17], v[16:17], s[12:13]
	v_fma_f64 v[20:21], v[18:19], s[12:13], v[20:21]
	v_fma_f64 v[22:23], v[18:19], s[6:7], v[16:17]
	;; [unrolled: 1-line block ×16, first 2 shown]
	v_add_f64 v[16:17], v[50:51], v[20:21]
	v_add_f64 v[20:21], v[50:51], -v[20:21]
	v_fma_f64 v[24:25], v[40:41], s[16:17], v[24:25]
	v_fma_f64 v[26:27], v[76:77], s[8:9], v[26:27]
	;; [unrolled: 1-line block ×3, first 2 shown]
	v_add_f64 v[18:19], v[58:59], v[22:23]
	v_add_f64 v[22:23], v[58:59], -v[22:23]
	v_fma_f64 v[50:51], v[28:29], s[12:13], v[24:25]
	v_fma_f64 v[24:25], v[70:71], s[6:7], v[103:104]
	v_fma_f64 v[26:27], v[30:31], s[12:13], v[26:27]
	v_fma_f64 v[34:35], v[34:35], s[16:17], v[40:41]
	v_fma_f64 v[40:41], v[44:45], s[12:13], v[32:33]
	v_fma_f64 v[32:33], v[52:53], s[12:13], v[36:37]
	v_fma_f64 v[24:25], v[105:106], s[16:17], v[24:25]
	v_fma_f64 v[42:43], v[48:49], s[12:13], v[34:35]
	v_fma_f64 v[24:25], v[46:47], s[12:13], v[24:25]
	v_mul_f64 v[28:29], v[24:25], s[14:15]
	v_mul_f64 v[24:25], v[24:25], s[20:21]
	v_fma_f64 v[28:29], v[26:27], s[20:21], v[28:29]
	v_fma_f64 v[30:31], v[26:27], s[6:7], v[24:25]
	v_add_f64 v[24:25], v[38:39], v[28:29]
	v_add_f64 v[28:29], v[38:39], -v[28:29]
	v_fma_f64 v[38:39], v[105:106], s[14:15], v[68:69]
	v_add_f64 v[26:27], v[50:51], v[30:31]
	v_add_f64 v[30:31], v[50:51], -v[30:31]
	v_fma_f64 v[38:39], v[70:71], s[16:17], v[38:39]
	v_fma_f64 v[38:39], v[54:55], s[12:13], v[38:39]
	v_mul_f64 v[34:35], v[38:39], s[16:17]
	v_mul_f64 v[36:37], v[38:39], s[18:19]
	v_fma_f64 v[38:39], v[32:33], s[18:19], v[34:35]
	v_fma_f64 v[44:45], v[32:33], s[8:9], v[36:37]
	v_add_f64 v[32:33], v[40:41], v[38:39]
	v_add_f64 v[34:35], v[42:43], v[44:45]
	v_add_f64 v[36:37], v[40:41], -v[38:39]
	v_add_f64 v[38:39], v[42:43], -v[44:45]
	ds_read_b128 v[40:43], v114 offset:2560
	ds_read_b128 v[44:47], v114 offset:7680
	;; [unrolled: 1-line block ×10, first 2 shown]
	s_waitcnt lgkmcnt(0)
	s_barrier
	ds_write_b128 v93, v[0:3]
	ds_write_b128 v93, v[12:15] offset:16
	ds_write_b128 v93, v[16:19] offset:32
	;; [unrolled: 1-line block ×9, first 2 shown]
	v_add_f64 v[2:3], v[42:43], v[50:51]
	v_add_f64 v[0:1], v[40:41], v[48:49]
	;; [unrolled: 1-line block ×3, first 2 shown]
	v_add_f64 v[34:35], v[56:57], -v[64:65]
	v_add_f64 v[20:21], v[72:73], -v[64:65]
	;; [unrolled: 1-line block ×5, first 2 shown]
	v_add_f64 v[2:3], v[2:3], v[58:59]
	v_add_f64 v[0:1], v[0:1], v[56:57]
	v_add_f64 v[16:17], v[56:57], -v[48:49]
	v_add_f64 v[6:7], v[58:59], v[66:67]
	v_add_f64 v[10:11], v[50:51], -v[58:59]
	v_add_f64 v[18:19], v[58:59], -v[50:51]
	;; [unrolled: 1-line block ×3, first 2 shown]
	v_add_f64 v[12:13], v[48:49], v[72:73]
	v_add_f64 v[2:3], v[2:3], v[66:67]
	;; [unrolled: 1-line block ×4, first 2 shown]
	v_add_f64 v[38:39], v[48:49], -v[72:73]
	v_add_f64 v[14:15], v[50:51], v[74:75]
	v_add_f64 v[24:25], v[74:75], -v[66:67]
	v_add_f64 v[26:27], v[66:67], -v[74:75]
	v_add_f64 v[48:49], v[60:61], v[68:69]
	v_add_f64 v[30:31], v[2:3], v[74:75]
	;; [unrolled: 1-line block ×5, first 2 shown]
	v_add_f64 v[50:51], v[62:63], -v[70:71]
	v_add_f64 v[56:57], v[52:53], -v[60:61]
	;; [unrolled: 1-line block ×5, first 2 shown]
	v_add_f64 v[2:3], v[2:3], v[62:63]
	v_add_f64 v[62:63], v[62:63], -v[54:55]
	v_add_f64 v[74:75], v[52:53], v[103:104]
	v_add_f64 v[52:53], v[52:53], -v[103:104]
	v_add_f64 v[54:55], v[54:55], v[105:106]
	v_fma_f64 v[64:65], v[64:65], -0.5, v[46:47]
	v_add_f64 v[0:1], v[0:1], v[60:61]
	v_add_f64 v[60:61], v[60:61], -v[68:69]
	v_add_f64 v[107:108], v[105:106], -v[70:71]
	v_fma_f64 v[48:49], v[48:49], -0.5, v[44:45]
	v_add_f64 v[76:77], v[103:104], -v[68:69]
	v_fma_f64 v[44:45], v[74:75], -0.5, v[44:45]
	v_fma_f64 v[46:47], v[54:55], -0.5, v[46:47]
	v_add_f64 v[54:55], v[8:9], v[20:21]
	v_fma_f64 v[8:9], v[52:53], s[6:7], v[64:65]
	v_add_f64 v[74:75], v[10:11], v[24:25]
	v_add_f64 v[66:67], v[66:67], v[107:108]
	v_fma_f64 v[10:11], v[72:73], s[14:15], v[48:49]
	v_add_f64 v[56:57], v[56:57], v[76:77]
	v_fma_f64 v[109:110], v[4:5], -0.5, v[40:41]
	v_fma_f64 v[40:41], v[12:13], -0.5, v[40:41]
	v_fma_f64 v[111:112], v[6:7], -0.5, v[42:43]
	v_fma_f64 v[8:9], v[60:61], s[8:9], v[8:9]
	v_fma_f64 v[42:43], v[14:15], -0.5, v[42:43]
	v_add_f64 v[2:3], v[2:3], v[70:71]
	v_fma_f64 v[10:11], v[50:51], s[16:17], v[10:11]
	v_add_f64 v[0:1], v[0:1], v[68:69]
	v_add_f64 v[70:71], v[70:71], -v[105:106]
	v_add_f64 v[68:69], v[68:69], -v[103:104]
	v_add_f64 v[26:27], v[18:19], v[26:27]
	v_fma_f64 v[8:9], v[66:67], s[12:13], v[8:9]
	v_fma_f64 v[18:19], v[50:51], s[6:7], v[44:45]
	v_add_f64 v[105:106], v[2:3], v[105:106]
	v_fma_f64 v[10:11], v[56:57], s[12:13], v[10:11]
	v_add_f64 v[103:104], v[0:1], v[103:104]
	v_mul_f64 v[12:13], v[8:9], s[16:17]
	v_fma_f64 v[18:19], v[72:73], s[16:17], v[18:19]
	v_add_f64 v[2:3], v[30:31], v[105:106]
	v_add_f64 v[6:7], v[30:31], -v[105:106]
	v_add_f64 v[30:31], v[62:63], v[70:71]
	v_add_f64 v[0:1], v[28:29], v[103:104]
	v_add_f64 v[4:5], v[28:29], -v[103:104]
	v_add_f64 v[28:29], v[58:59], v[68:69]
	v_fma_f64 v[12:13], v[10:11], s[22:23], v[12:13]
	v_mul_f64 v[10:11], v[10:11], s[8:9]
	v_fma_f64 v[18:19], v[28:29], s[12:13], v[18:19]
	v_fma_f64 v[14:15], v[8:9], s[22:23], v[10:11]
	;; [unrolled: 1-line block ×8, first 2 shown]
	v_add_f64 v[10:11], v[24:25], v[14:15]
	v_add_f64 v[14:15], v[24:25], -v[14:15]
	v_add_f64 v[24:25], v[16:17], v[22:23]
	v_fma_f64 v[16:17], v[60:61], s[14:15], v[46:47]
	v_add_f64 v[8:9], v[20:21], v[12:13]
	v_add_f64 v[12:13], v[20:21], -v[12:13]
	v_fma_f64 v[16:17], v[52:53], s[8:9], v[16:17]
	v_fma_f64 v[16:17], v[30:31], s[12:13], v[16:17]
	v_mul_f64 v[20:21], v[16:17], s[14:15]
	v_mul_f64 v[16:17], v[16:17], s[12:13]
	v_fma_f64 v[20:21], v[18:19], s[12:13], v[20:21]
	v_fma_f64 v[22:23], v[18:19], s[6:7], v[16:17]
	;; [unrolled: 1-line block ×14, first 2 shown]
	v_add_f64 v[16:17], v[58:59], v[20:21]
	v_add_f64 v[20:21], v[58:59], -v[20:21]
	v_fma_f64 v[24:25], v[38:39], s[16:17], v[24:25]
	v_fma_f64 v[38:39], v[38:39], s[14:15], v[111:112]
	v_add_f64 v[18:19], v[62:63], v[22:23]
	v_add_f64 v[22:23], v[62:63], -v[22:23]
	v_fma_f64 v[42:43], v[26:27], s[12:13], v[24:25]
	v_fma_f64 v[24:25], v[60:61], s[6:7], v[46:47]
	;; [unrolled: 1-line block ×8, first 2 shown]
	v_mul_f64 v[28:29], v[24:25], s[14:15]
	v_mul_f64 v[24:25], v[24:25], s[20:21]
	v_fma_f64 v[28:29], v[26:27], s[20:21], v[28:29]
	v_fma_f64 v[30:31], v[26:27], s[6:7], v[24:25]
	v_add_f64 v[24:25], v[40:41], v[28:29]
	v_add_f64 v[28:29], v[40:41], -v[28:29]
	v_fma_f64 v[40:41], v[52:53], s[14:15], v[64:65]
	v_add_f64 v[26:27], v[42:43], v[30:31]
	v_add_f64 v[30:31], v[42:43], -v[30:31]
	v_fma_f64 v[42:43], v[72:73], s[6:7], v[48:49]
	v_fma_f64 v[40:41], v[60:61], s[16:17], v[40:41]
	;; [unrolled: 1-line block ×7, first 2 shown]
	v_mul_f64 v[34:35], v[38:39], s[16:17]
	v_mul_f64 v[36:37], v[38:39], s[18:19]
	v_fma_f64 v[38:39], v[32:33], s[18:19], v[34:35]
	v_fma_f64 v[44:45], v[32:33], s[8:9], v[36:37]
	v_add_f64 v[32:33], v[40:41], v[38:39]
	v_add_f64 v[34:35], v[42:43], v[44:45]
	v_add_f64 v[36:37], v[40:41], -v[38:39]
	v_add_f64 v[38:39], v[42:43], -v[44:45]
	ds_write_b128 v92, v[0:3]
	ds_write_b128 v92, v[8:11] offset:16
	ds_write_b128 v92, v[16:19] offset:32
	;; [unrolled: 1-line block ×9, first 2 shown]
	s_waitcnt lgkmcnt(0)
	s_barrier
	ds_read_b128 v[0:3], v114 offset:5120
	buffer_load_dword v6, off, s[40:43], 0 offset:604 ; 4-byte Folded Reload
	buffer_load_dword v7, off, s[40:43], 0 offset:608 ; 4-byte Folded Reload
	buffer_load_dword v8, off, s[40:43], 0 offset:612 ; 4-byte Folded Reload
	buffer_load_dword v9, off, s[40:43], 0 offset:616 ; 4-byte Folded Reload
	s_waitcnt vmcnt(0) lgkmcnt(0)
	v_mul_f64 v[4:5], v[8:9], v[2:3]
	v_fma_f64 v[52:53], v[6:7], v[0:1], v[4:5]
	v_mul_f64 v[0:1], v[8:9], v[0:1]
	v_fma_f64 v[54:55], v[6:7], v[2:3], -v[0:1]
	ds_read_b128 v[0:3], v114 offset:10240
	buffer_load_dword v6, off, s[40:43], 0 offset:588 ; 4-byte Folded Reload
	buffer_load_dword v7, off, s[40:43], 0 offset:592 ; 4-byte Folded Reload
	buffer_load_dword v8, off, s[40:43], 0 offset:596 ; 4-byte Folded Reload
	buffer_load_dword v9, off, s[40:43], 0 offset:600 ; 4-byte Folded Reload
	s_waitcnt vmcnt(0) lgkmcnt(0)
	v_mul_f64 v[4:5], v[8:9], v[2:3]
	v_fma_f64 v[58:59], v[6:7], v[0:1], v[4:5]
	v_mul_f64 v[0:1], v[8:9], v[0:1]
	v_fma_f64 v[60:61], v[6:7], v[2:3], -v[0:1]
	;; [unrolled: 10-line block ×3, first 2 shown]
	ds_read_b128 v[0:3], v114 offset:20480
	buffer_load_dword v6, off, s[40:43], 0 offset:556 ; 4-byte Folded Reload
	buffer_load_dword v7, off, s[40:43], 0 offset:560 ; 4-byte Folded Reload
	;; [unrolled: 1-line block ×4, first 2 shown]
	v_add_f64 v[10:11], v[54:55], v[64:65]
	s_waitcnt vmcnt(0) lgkmcnt(0)
	v_mul_f64 v[4:5], v[8:9], v[2:3]
	v_fma_f64 v[66:67], v[6:7], v[0:1], v[4:5]
	v_mul_f64 v[0:1], v[8:9], v[0:1]
	v_fma_f64 v[68:69], v[6:7], v[2:3], -v[0:1]
	ds_read_b128 v[0:3], v114 offset:25600
	buffer_load_dword v6, off, s[40:43], 0 offset:540 ; 4-byte Folded Reload
	buffer_load_dword v7, off, s[40:43], 0 offset:544 ; 4-byte Folded Reload
	buffer_load_dword v8, off, s[40:43], 0 offset:548 ; 4-byte Folded Reload
	buffer_load_dword v9, off, s[40:43], 0 offset:552 ; 4-byte Folded Reload
	s_waitcnt vmcnt(0) lgkmcnt(0)
	v_mul_f64 v[4:5], v[8:9], v[2:3]
	v_fma_f64 v[70:71], v[6:7], v[0:1], v[4:5]
	v_mul_f64 v[0:1], v[8:9], v[0:1]
	v_fma_f64 v[72:73], v[6:7], v[2:3], -v[0:1]
	ds_read_b128 v[0:3], v114 offset:30720
	buffer_load_dword v6, off, s[40:43], 0 offset:524 ; 4-byte Folded Reload
	buffer_load_dword v7, off, s[40:43], 0 offset:528 ; 4-byte Folded Reload
	;; [unrolled: 1-line block ×4, first 2 shown]
	v_add_f64 v[10:11], v[10:11], v[72:73]
	s_waitcnt vmcnt(0) lgkmcnt(0)
	v_mul_f64 v[4:5], v[8:9], v[2:3]
	v_fma_f64 v[74:75], v[6:7], v[0:1], v[4:5]
	v_mul_f64 v[0:1], v[8:9], v[0:1]
	v_fma_f64 v[76:77], v[6:7], v[2:3], -v[0:1]
	ds_read_b128 v[0:3], v114 offset:35840
	buffer_load_dword v6, off, s[40:43], 0 offset:508 ; 4-byte Folded Reload
	buffer_load_dword v7, off, s[40:43], 0 offset:512 ; 4-byte Folded Reload
	;; [unrolled: 1-line block ×4, first 2 shown]
	s_waitcnt vmcnt(0) lgkmcnt(0)
	v_mul_f64 v[4:5], v[8:9], v[2:3]
	v_fma_f64 v[103:104], v[6:7], v[0:1], v[4:5]
	v_mul_f64 v[0:1], v[8:9], v[0:1]
	v_add_f64 v[101:102], v[70:71], -v[103:104]
	v_fma_f64 v[105:106], v[6:7], v[2:3], -v[0:1]
	ds_read_b128 v[0:3], v114 offset:40960
	buffer_load_dword v6, off, s[40:43], 0 offset:492 ; 4-byte Folded Reload
	buffer_load_dword v7, off, s[40:43], 0 offset:496 ; 4-byte Folded Reload
	buffer_load_dword v8, off, s[40:43], 0 offset:500 ; 4-byte Folded Reload
	buffer_load_dword v9, off, s[40:43], 0 offset:504 ; 4-byte Folded Reload
	v_add_f64 v[10:11], v[10:11], v[105:106]
	v_add_f64 v[98:99], v[72:73], -v[105:106]
	s_waitcnt vmcnt(0) lgkmcnt(0)
	v_mul_f64 v[4:5], v[8:9], v[2:3]
	v_fma_f64 v[107:108], v[6:7], v[0:1], v[4:5]
	v_mul_f64 v[0:1], v[8:9], v[0:1]
	v_add_f64 v[127:128], v[58:59], -v[107:108]
	v_fma_f64 v[109:110], v[6:7], v[2:3], -v[0:1]
	ds_read_b128 v[0:3], v114 offset:46080
	buffer_load_dword v6, off, s[40:43], 0 offset:460 ; 4-byte Folded Reload
	buffer_load_dword v7, off, s[40:43], 0 offset:464 ; 4-byte Folded Reload
	;; [unrolled: 1-line block ×4, first 2 shown]
	v_add_f64 v[129:130], v[60:61], -v[109:110]
	s_waitcnt vmcnt(0) lgkmcnt(0)
	v_mul_f64 v[4:5], v[8:9], v[2:3]
	v_fma_f64 v[111:112], v[6:7], v[0:1], v[4:5]
	v_mul_f64 v[0:1], v[8:9], v[0:1]
	v_add_f64 v[12:13], v[62:63], -v[111:112]
	v_fma_f64 v[131:132], v[6:7], v[2:3], -v[0:1]
	ds_read_b128 v[0:3], v114 offset:7680
	buffer_load_dword v6, off, s[40:43], 0 offset:476 ; 4-byte Folded Reload
	buffer_load_dword v7, off, s[40:43], 0 offset:480 ; 4-byte Folded Reload
	;; [unrolled: 1-line block ×4, first 2 shown]
	v_add_f64 v[10:11], v[10:11], v[131:132]
	s_waitcnt vmcnt(0) lgkmcnt(0)
	v_mul_f64 v[4:5], v[8:9], v[2:3]
	v_fma_f64 v[119:120], v[6:7], v[0:1], v[4:5]
	v_mul_f64 v[0:1], v[8:9], v[0:1]
	v_fma_f64 v[117:118], v[6:7], v[2:3], -v[0:1]
	ds_read_b128 v[0:3], v114 offset:12800
	buffer_load_dword v6, off, s[40:43], 0 offset:444 ; 4-byte Folded Reload
	buffer_load_dword v7, off, s[40:43], 0 offset:448 ; 4-byte Folded Reload
	buffer_load_dword v8, off, s[40:43], 0 offset:452 ; 4-byte Folded Reload
	buffer_load_dword v9, off, s[40:43], 0 offset:456 ; 4-byte Folded Reload
	s_waitcnt vmcnt(0) lgkmcnt(0)
	v_mul_f64 v[4:5], v[8:9], v[2:3]
	v_fma_f64 v[86:87], v[6:7], v[0:1], v[4:5]
	v_mul_f64 v[0:1], v[8:9], v[0:1]
	v_fma_f64 v[88:89], v[6:7], v[2:3], -v[0:1]
	ds_read_b128 v[0:3], v114 offset:17920
	buffer_load_dword v6, off, s[40:43], 0 offset:428 ; 4-byte Folded Reload
	buffer_load_dword v7, off, s[40:43], 0 offset:432 ; 4-byte Folded Reload
	buffer_load_dword v8, off, s[40:43], 0 offset:436 ; 4-byte Folded Reload
	buffer_load_dword v9, off, s[40:43], 0 offset:440 ; 4-byte Folded Reload
	;; [unrolled: 10-line block ×8, first 2 shown]
	s_waitcnt vmcnt(0) lgkmcnt(0)
	v_mul_f64 v[4:5], v[8:9], v[2:3]
	v_fma_f64 v[50:51], v[6:7], v[0:1], v[4:5]
	v_mul_f64 v[0:1], v[8:9], v[0:1]
	v_add_f64 v[4:5], v[66:67], v[74:75]
	v_add_f64 v[8:9], v[52:53], v[62:63]
	v_fma_f64 v[48:49], v[6:7], v[2:3], -v[0:1]
	ds_read_b128 v[0:3], v114
	v_add_f64 v[6:7], v[60:61], v[109:110]
	v_add_f64 v[8:9], v[8:9], v[70:71]
	s_waitcnt lgkmcnt(0)
	v_fma_f64 v[56:57], v[4:5], -0.5, v[0:1]
	v_add_f64 v[4:5], v[58:59], v[107:108]
	v_fma_f64 v[22:23], v[6:7], -0.5, v[2:3]
	v_add_f64 v[8:9], v[8:9], v[103:104]
	v_add_f64 v[6:7], v[64:65], -v[131:132]
	v_fma_f64 v[133:134], v[4:5], -0.5, v[0:1]
	v_add_f64 v[4:5], v[68:69], v[76:77]
	v_add_f64 v[0:1], v[0:1], v[58:59]
	;; [unrolled: 1-line block ×3, first 2 shown]
	v_fma_f64 v[28:29], v[4:5], -0.5, v[2:3]
	v_add_f64 v[2:3], v[2:3], v[60:61]
	v_add_f64 v[0:1], v[0:1], v[66:67]
	v_add_f64 v[4:5], v[68:69], -v[76:77]
	v_add_f64 v[2:3], v[2:3], v[68:69]
	v_add_f64 v[0:1], v[0:1], v[74:75]
	;; [unrolled: 1-line block ×6, first 2 shown]
	v_add_f64 v[78:79], v[0:1], -v[8:9]
	v_add_f64 v[8:9], v[58:59], -v[66:67]
	v_add_f64 v[96:97], v[2:3], v[10:11]
	v_add_f64 v[80:81], v[2:3], -v[10:11]
	v_add_f64 v[10:11], v[107:108], -v[74:75]
	;; [unrolled: 1-line block ×3, first 2 shown]
	v_add_f64 v[90:91], v[8:9], v[10:11]
	v_add_f64 v[8:9], v[60:61], -v[68:69]
	v_add_f64 v[10:11], v[109:110], -v[76:77]
	;; [unrolled: 1-line block ×4, first 2 shown]
	v_add_f64 v[62:63], v[62:63], v[111:112]
	v_add_f64 v[20:21], v[8:9], v[10:11]
	v_add_f64 v[8:9], v[111:112], -v[103:104]
	v_add_f64 v[10:11], v[131:132], -v[105:106]
	v_fma_f64 v[62:63], v[62:63], -0.5, v[52:53]
	v_add_f64 v[18:19], v[2:3], v[8:9]
	v_add_f64 v[8:9], v[64:65], -v[72:73]
	v_add_f64 v[2:3], v[66:67], -v[74:75]
	v_add_f64 v[16:17], v[8:9], v[10:11]
	v_add_f64 v[8:9], v[70:71], v[103:104]
	v_add_f64 v[70:71], v[103:104], -v[111:112]
	v_fma_f64 v[84:85], v[8:9], -0.5, v[52:53]
	v_add_f64 v[8:9], v[72:73], v[105:106]
	v_add_f64 v[72:73], v[72:73], -v[64:65]
	v_add_f64 v[64:65], v[64:65], v[131:132]
	v_add_f64 v[68:69], v[68:69], v[70:71]
	v_fma_f64 v[10:11], v[6:7], s[14:15], v[84:85]
	v_fma_f64 v[14:15], v[8:9], -0.5, v[54:55]
	v_fma_f64 v[64:65], v[64:65], -0.5, v[54:55]
	v_fma_f64 v[54:55], v[98:99], s[6:7], v[62:63]
	v_fma_f64 v[62:63], v[98:99], s[14:15], v[62:63]
	;; [unrolled: 1-line block ×11, first 2 shown]
	v_add_f64 v[84:85], v[82:83], -v[38:39]
	v_fma_f64 v[52:53], v[12:13], s[8:9], v[52:53]
	v_fma_f64 v[54:55], v[68:69], s[12:13], v[54:55]
	;; [unrolled: 1-line block ×7, first 2 shown]
	v_mul_f64 v[24:25], v[8:9], s[16:17]
	v_mul_f64 v[8:9], v[8:9], s[22:23]
	v_fma_f64 v[0:1], v[10:11], s[22:23], v[24:25]
	v_fma_f64 v[10:11], v[10:11], s[8:9], v[8:9]
	v_fma_f64 v[8:9], v[129:130], s[14:15], v[56:57]
	v_fma_f64 v[24:25], v[127:128], s[6:7], v[28:29]
	v_fma_f64 v[8:9], v[4:5], s[16:17], v[8:9]
	v_fma_f64 v[24:25], v[2:3], s[8:9], v[24:25]
	v_fma_f64 v[8:9], v[90:91], s[12:13], v[8:9]
	v_fma_f64 v[125:126], v[20:21], s[12:13], v[24:25]
	v_add_f64 v[24:25], v[8:9], v[0:1]
	v_add_f64 v[8:9], v[8:9], -v[0:1]
	v_add_f64 v[0:1], v[66:67], -v[58:59]
	;; [unrolled: 1-line block ×5, first 2 shown]
	v_add_f64 v[26:27], v[125:126], v[10:11]
	ds_read_b128 v[103:106], v114 offset:2560
	v_add_f64 v[10:11], v[125:126], -v[10:11]
	s_waitcnt lgkmcnt(0)
	s_barrier
	v_add_f64 v[0:1], v[0:1], v[58:59]
	v_add_f64 v[70:71], v[72:73], v[74:75]
	;; [unrolled: 1-line block ×3, first 2 shown]
	v_fma_f64 v[52:53], v[70:71], s[12:13], v[52:53]
	v_fma_f64 v[64:65], v[70:71], s[12:13], v[64:65]
	v_mul_f64 v[58:59], v[52:53], s[14:15]
	v_mul_f64 v[52:53], v[52:53], s[12:13]
	v_fma_f64 v[58:59], v[54:55], s[12:13], v[58:59]
	v_fma_f64 v[60:61], v[54:55], s[6:7], v[52:53]
	;; [unrolled: 1-line block ×11, first 2 shown]
	v_mul_f64 v[66:67], v[64:65], s[14:15]
	v_mul_f64 v[64:65], v[64:65], s[20:21]
	v_add_f64 v[52:53], v[72:73], v[58:59]
	v_add_f64 v[58:59], v[72:73], -v[58:59]
	v_fma_f64 v[72:73], v[4:5], s[14:15], v[133:134]
	v_fma_f64 v[66:67], v[62:63], s[20:21], v[66:67]
	;; [unrolled: 1-line block ×3, first 2 shown]
	v_add_f64 v[54:55], v[74:75], v[60:61]
	v_add_f64 v[60:61], v[74:75], -v[60:61]
	v_fma_f64 v[72:73], v[129:130], s[8:9], v[72:73]
	v_add_f64 v[64:65], v[22:23], v[68:69]
	v_add_f64 v[68:69], v[22:23], -v[68:69]
	v_add_f64 v[22:23], v[40:41], -v[46:47]
	v_fma_f64 v[0:1], v[0:1], s[12:13], v[72:73]
	v_add_f64 v[62:63], v[0:1], v[66:67]
	v_add_f64 v[66:67], v[0:1], -v[66:67]
	v_fma_f64 v[0:1], v[12:13], s[14:15], v[14:15]
	v_fma_f64 v[12:13], v[129:130], s[6:7], v[56:57]
	;; [unrolled: 1-line block ×3, first 2 shown]
	v_add_f64 v[28:29], v[34:35], -v[92:93]
	v_fma_f64 v[0:1], v[101:102], s[16:17], v[0:1]
	v_fma_f64 v[4:5], v[4:5], s[8:9], v[12:13]
	;; [unrolled: 1-line block ×6, first 2 shown]
	v_add_f64 v[20:21], v[30:31], -v[88:89]
	v_mul_f64 v[12:13], v[0:1], s[16:17]
	v_mul_f64 v[0:1], v[0:1], s[18:19]
	v_fma_f64 v[12:13], v[6:7], s[18:19], v[12:13]
	v_fma_f64 v[0:1], v[6:7], s[8:9], v[0:1]
	v_add_f64 v[6:7], v[117:118], v[115:116]
	v_add_f64 v[70:71], v[4:5], v[12:13]
	;; [unrolled: 1-line block ×3, first 2 shown]
	v_add_f64 v[76:77], v[2:3], -v[0:1]
	v_add_f64 v[0:1], v[82:83], v[38:39]
	v_add_f64 v[74:75], v[4:5], -v[12:13]
	ds_write_b128 v100, v[94:97]
	ds_write_b128 v100, v[24:27] offset:160
	ds_write_b128 v100, v[52:55] offset:320
	;; [unrolled: 1-line block ×9, first 2 shown]
	v_add_f64 v[2:3], v[105:106], v[88:89]
	v_add_f64 v[4:5], v[119:120], v[92:93]
	;; [unrolled: 1-line block ×3, first 2 shown]
	v_add_f64 v[68:69], v[92:93], -v[50:51]
	v_add_f64 v[70:71], v[34:35], -v[42:43]
	v_fma_f64 v[52:53], v[0:1], -0.5, v[103:104]
	v_add_f64 v[0:1], v[86:87], v[44:45]
	v_add_f64 v[72:73], v[115:116], -v[48:49]
	v_add_f64 v[2:3], v[2:3], v[30:31]
	v_add_f64 v[4:5], v[4:5], v[34:35]
	;; [unrolled: 1-line block ×3, first 2 shown]
	v_add_f64 v[74:75], v[32:33], -v[36:37]
	v_add_f64 v[80:81], v[86:87], -v[44:45]
	;; [unrolled: 1-line block ×3, first 2 shown]
	v_fma_f64 v[24:25], v[0:1], -0.5, v[103:104]
	v_add_f64 v[0:1], v[30:31], v[40:41]
	v_add_f64 v[2:3], v[2:3], v[40:41]
	;; [unrolled: 1-line block ×4, first 2 shown]
	v_add_f64 v[78:79], v[30:31], -v[40:41]
	v_fma_f64 v[54:55], v[0:1], -0.5, v[105:106]
	v_add_f64 v[0:1], v[88:89], v[46:47]
	v_add_f64 v[10:11], v[2:3], v[46:47]
	;; [unrolled: 1-line block ×3, first 2 shown]
	v_fma_f64 v[26:27], v[0:1], -0.5, v[105:106]
	v_add_f64 v[0:1], v[103:104], v[86:87]
	v_add_f64 v[2:3], v[10:11], v[6:7]
	v_add_f64 v[6:7], v[10:11], -v[6:7]
	v_add_f64 v[10:11], v[44:45], -v[38:39]
	v_add_f64 v[0:1], v[0:1], v[82:83]
	v_add_f64 v[0:1], v[0:1], v[38:39]
	;; [unrolled: 1-line block ×4, first 2 shown]
	v_add_f64 v[4:5], v[8:9], -v[4:5]
	v_add_f64 v[8:9], v[86:87], -v[82:83]
	v_add_f64 v[56:57], v[8:9], v[10:11]
	v_add_f64 v[8:9], v[88:89], -v[30:31]
	v_add_f64 v[10:11], v[46:47], -v[40:41]
	v_add_f64 v[30:31], v[92:93], v[50:51]
	v_add_f64 v[58:59], v[8:9], v[10:11]
	v_add_f64 v[8:9], v[92:93], -v[34:35]
	v_add_f64 v[10:11], v[50:51], -v[42:43]
	v_fma_f64 v[30:31], v[30:31], -0.5, v[119:120]
	v_add_f64 v[60:61], v[8:9], v[10:11]
	v_add_f64 v[8:9], v[115:116], -v[32:33]
	v_add_f64 v[10:11], v[48:49], -v[36:37]
	v_add_f64 v[62:63], v[8:9], v[10:11]
	v_add_f64 v[8:9], v[34:35], v[42:43]
	v_add_f64 v[34:35], v[42:43], -v[50:51]
	v_add_f64 v[42:43], v[20:21], v[22:23]
	v_fma_f64 v[64:65], v[8:9], -0.5, v[119:120]
	v_add_f64 v[8:9], v[32:33], v[36:37]
	v_add_f64 v[32:33], v[32:33], -v[115:116]
	v_add_f64 v[36:37], v[36:37], -v[48:49]
	v_add_f64 v[28:29], v[28:29], v[34:35]
	v_fma_f64 v[10:11], v[72:73], s[14:15], v[64:65]
	v_fma_f64 v[66:67], v[8:9], -0.5, v[117:118]
	v_add_f64 v[32:33], v[32:33], v[36:37]
	v_fma_f64 v[10:11], v[74:75], s[16:17], v[10:11]
	v_fma_f64 v[8:9], v[68:69], s[6:7], v[66:67]
	;; [unrolled: 1-line block ×5, first 2 shown]
	v_mul_f64 v[12:13], v[8:9], s[16:17]
	v_mul_f64 v[8:9], v[8:9], s[22:23]
	v_fma_f64 v[12:13], v[10:11], s[22:23], v[12:13]
	v_fma_f64 v[14:15], v[10:11], s[8:9], v[8:9]
	;; [unrolled: 1-line block ×8, first 2 shown]
	v_add_f64 v[10:11], v[18:19], v[14:15]
	v_add_f64 v[14:15], v[18:19], -v[14:15]
	v_add_f64 v[18:19], v[38:39], -v[44:45]
	v_add_f64 v[38:39], v[115:116], v[48:49]
	v_add_f64 v[8:9], v[16:17], v[12:13]
	v_add_f64 v[12:13], v[16:17], -v[12:13]
	v_add_f64 v[16:17], v[82:83], -v[86:87]
	v_fma_f64 v[38:39], v[38:39], -0.5, v[117:118]
	v_add_f64 v[40:41], v[16:17], v[18:19]
	v_fma_f64 v[18:19], v[74:75], s[6:7], v[30:31]
	v_fma_f64 v[16:17], v[70:71], s[14:15], v[38:39]
	;; [unrolled: 1-line block ×6, first 2 shown]
	v_mul_f64 v[20:21], v[16:17], s[14:15]
	v_mul_f64 v[16:17], v[16:17], s[12:13]
	v_fma_f64 v[20:21], v[18:19], s[12:13], v[20:21]
	v_fma_f64 v[22:23], v[18:19], s[6:7], v[16:17]
	;; [unrolled: 1-line block ×10, first 2 shown]
	v_add_f64 v[16:17], v[34:35], v[20:21]
	v_add_f64 v[20:21], v[34:35], -v[20:21]
	v_fma_f64 v[34:35], v[40:41], s[12:13], v[24:25]
	v_fma_f64 v[24:25], v[84:85], s[6:7], v[26:27]
	v_add_f64 v[18:19], v[36:37], v[22:23]
	v_add_f64 v[22:23], v[36:37], -v[22:23]
	v_fma_f64 v[26:27], v[74:75], s[14:15], v[30:31]
	v_fma_f64 v[24:25], v[80:81], s[16:17], v[24:25]
	v_fma_f64 v[26:27], v[72:73], s[8:9], v[26:27]
	v_fma_f64 v[36:37], v[42:43], s[12:13], v[24:25]
	v_fma_f64 v[24:25], v[70:71], s[6:7], v[38:39]
	v_fma_f64 v[38:39], v[72:73], s[6:7], v[64:65]
	v_fma_f64 v[26:27], v[28:29], s[12:13], v[26:27]
	v_fma_f64 v[24:25], v[68:69], s[16:17], v[24:25]
	v_fma_f64 v[38:39], v[74:75], s[8:9], v[38:39]
	v_fma_f64 v[24:25], v[32:33], s[12:13], v[24:25]
	v_fma_f64 v[32:33], v[68:69], s[14:15], v[66:67]
	v_mul_f64 v[28:29], v[24:25], s[14:15]
	v_mul_f64 v[24:25], v[24:25], s[20:21]
	v_fma_f64 v[32:33], v[70:71], s[16:17], v[32:33]
	v_fma_f64 v[28:29], v[26:27], s[20:21], v[28:29]
	v_fma_f64 v[30:31], v[26:27], s[6:7], v[24:25]
	v_fma_f64 v[32:33], v[62:63], s[12:13], v[32:33]
	v_add_f64 v[24:25], v[34:35], v[28:29]
	v_add_f64 v[26:27], v[36:37], v[30:31]
	v_add_f64 v[28:29], v[34:35], -v[28:29]
	v_add_f64 v[30:31], v[36:37], -v[30:31]
	v_fma_f64 v[34:35], v[76:77], s[6:7], v[52:53]
	v_fma_f64 v[36:37], v[80:81], s[14:15], v[54:55]
	;; [unrolled: 1-line block ×7, first 2 shown]
	v_mul_f64 v[36:37], v[32:33], s[16:17]
	v_mul_f64 v[32:33], v[32:33], s[18:19]
	v_fma_f64 v[36:37], v[34:35], s[18:19], v[36:37]
	v_fma_f64 v[38:39], v[34:35], s[8:9], v[32:33]
	s_mul_i32 s8, s1, 0x2800
	v_add_f64 v[32:33], v[40:41], v[36:37]
	v_add_f64 v[34:35], v[42:43], v[38:39]
	v_add_f64 v[36:37], v[40:41], -v[36:37]
	v_add_f64 v[38:39], v[42:43], -v[38:39]
	ds_write_b128 v155, v[0:3]
	ds_write_b128 v155, v[8:11] offset:160
	ds_write_b128 v155, v[16:19] offset:320
	;; [unrolled: 1-line block ×9, first 2 shown]
	s_waitcnt lgkmcnt(0)
	s_barrier
	ds_read_b128 v[0:3], v114 offset:12800
	buffer_load_dword v6, off, s[40:43], 0 offset:700 ; 4-byte Folded Reload
	buffer_load_dword v7, off, s[40:43], 0 offset:704 ; 4-byte Folded Reload
	;; [unrolled: 1-line block ×4, first 2 shown]
	s_waitcnt vmcnt(0) lgkmcnt(0)
	v_mul_f64 v[4:5], v[8:9], v[2:3]
	v_fma_f64 v[4:5], v[6:7], v[0:1], v[4:5]
	v_mul_f64 v[0:1], v[8:9], v[0:1]
	v_fma_f64 v[6:7], v[6:7], v[2:3], -v[0:1]
	ds_read_b128 v[0:3], v114 offset:25600
	buffer_load_dword v10, off, s[40:43], 0 offset:684 ; 4-byte Folded Reload
	buffer_load_dword v11, off, s[40:43], 0 offset:688 ; 4-byte Folded Reload
	buffer_load_dword v12, off, s[40:43], 0 offset:692 ; 4-byte Folded Reload
	buffer_load_dword v13, off, s[40:43], 0 offset:696 ; 4-byte Folded Reload
	s_waitcnt vmcnt(0) lgkmcnt(0)
	v_mul_f64 v[8:9], v[12:13], v[2:3]
	v_fma_f64 v[8:9], v[10:11], v[0:1], v[8:9]
	v_mul_f64 v[0:1], v[12:13], v[0:1]
	v_fma_f64 v[10:11], v[10:11], v[2:3], -v[0:1]
	ds_read_b128 v[0:3], v114 offset:38400
	buffer_load_dword v14, off, s[40:43], 0 offset:668 ; 4-byte Folded Reload
	buffer_load_dword v15, off, s[40:43], 0 offset:672 ; 4-byte Folded Reload
	;; [unrolled: 1-line block ×4, first 2 shown]
	s_waitcnt vmcnt(0) lgkmcnt(0)
	v_mul_f64 v[12:13], v[16:17], v[2:3]
	v_fma_f64 v[12:13], v[14:15], v[0:1], v[12:13]
	v_mul_f64 v[0:1], v[16:17], v[0:1]
	v_add_f64 v[76:77], v[4:5], -v[12:13]
	v_fma_f64 v[14:15], v[14:15], v[2:3], -v[0:1]
	ds_read_b128 v[0:3], v114 offset:15360
	buffer_load_dword v18, off, s[40:43], 0 offset:652 ; 4-byte Folded Reload
	buffer_load_dword v19, off, s[40:43], 0 offset:656 ; 4-byte Folded Reload
	;; [unrolled: 1-line block ×4, first 2 shown]
	v_add_f64 v[78:79], v[6:7], -v[14:15]
	s_waitcnt vmcnt(0) lgkmcnt(0)
	v_mul_f64 v[16:17], v[20:21], v[2:3]
	v_fma_f64 v[28:29], v[18:19], v[0:1], v[16:17]
	v_mul_f64 v[0:1], v[20:21], v[0:1]
	v_fma_f64 v[30:31], v[18:19], v[2:3], -v[0:1]
	ds_read_b128 v[0:3], v114 offset:28160
	buffer_load_dword v18, off, s[40:43], 0 offset:636 ; 4-byte Folded Reload
	buffer_load_dword v19, off, s[40:43], 0 offset:640 ; 4-byte Folded Reload
	buffer_load_dword v20, off, s[40:43], 0 offset:644 ; 4-byte Folded Reload
	buffer_load_dword v21, off, s[40:43], 0 offset:648 ; 4-byte Folded Reload
	s_waitcnt vmcnt(0) lgkmcnt(0)
	v_mul_f64 v[16:17], v[20:21], v[2:3]
	v_fma_f64 v[32:33], v[18:19], v[0:1], v[16:17]
	v_mul_f64 v[0:1], v[20:21], v[0:1]
	v_fma_f64 v[34:35], v[18:19], v[2:3], -v[0:1]
	ds_read_b128 v[0:3], v114 offset:40960
	buffer_load_dword v18, off, s[40:43], 0 offset:764 ; 4-byte Folded Reload
	buffer_load_dword v19, off, s[40:43], 0 offset:768 ; 4-byte Folded Reload
	buffer_load_dword v20, off, s[40:43], 0 offset:772 ; 4-byte Folded Reload
	buffer_load_dword v21, off, s[40:43], 0 offset:776 ; 4-byte Folded Reload
	;; [unrolled: 10-line block ×5, first 2 shown]
	s_waitcnt vmcnt(0) lgkmcnt(0)
	v_mul_f64 v[16:17], v[20:21], v[2:3]
	v_fma_f64 v[48:49], v[18:19], v[0:1], v[16:17]
	v_mul_f64 v[0:1], v[20:21], v[0:1]
	v_fma_f64 v[50:51], v[18:19], v[2:3], -v[0:1]
	ds_read_b128 v[0:3], v114 offset:20480
	s_waitcnt lgkmcnt(0)
	v_mul_f64 v[16:17], v[190:191], v[2:3]
	v_fma_f64 v[52:53], v[188:189], v[0:1], v[16:17]
	v_mul_f64 v[0:1], v[190:191], v[0:1]
	v_fma_f64 v[54:55], v[188:189], v[2:3], -v[0:1]
	ds_read_b128 v[0:3], v114 offset:33280
	s_waitcnt lgkmcnt(0)
	;; [unrolled: 6-line block ×6, first 2 shown]
	v_mul_f64 v[16:17], v[210:211], v[2:3]
	v_fma_f64 v[72:73], v[208:209], v[0:1], v[16:17]
	v_mul_f64 v[0:1], v[210:211], v[0:1]
	v_fma_f64 v[74:75], v[208:209], v[2:3], -v[0:1]
	ds_read_b128 v[0:3], v114
	s_waitcnt lgkmcnt(0)
	v_add_f64 v[24:25], v[0:1], -v[8:9]
	v_add_f64 v[26:27], v[2:3], -v[10:11]
	v_fma_f64 v[8:9], v[0:1], 2.0, -v[24:25]
	v_fma_f64 v[10:11], v[2:3], 2.0, -v[26:27]
	v_fma_f64 v[0:1], v[4:5], 2.0, -v[76:77]
	v_fma_f64 v[2:3], v[6:7], 2.0, -v[78:79]
	v_add_f64 v[0:1], v[8:9], -v[0:1]
	v_add_f64 v[2:3], v[10:11], -v[2:3]
	v_fma_f64 v[4:5], v[8:9], 2.0, -v[0:1]
	v_fma_f64 v[6:7], v[10:11], 2.0, -v[2:3]
	ds_read_b128 v[8:11], v114 offset:2560
	ds_read_b128 v[12:15], v114 offset:5120
	;; [unrolled: 1-line block ×4, first 2 shown]
	s_waitcnt lgkmcnt(0)
	s_barrier
	buffer_load_dword v80, off, s[40:43], 0 offset:792 ; 4-byte Folded Reload
	s_waitcnt vmcnt(0)
	ds_write_b128 v80, v[4:7]
	v_add_f64 v[4:5], v[24:25], v[78:79]
	v_add_f64 v[6:7], v[26:27], -v[76:77]
	v_fma_f64 v[24:25], v[24:25], 2.0, -v[4:5]
	v_fma_f64 v[26:27], v[26:27], 2.0, -v[6:7]
	ds_write_b128 v80, v[24:27] offset:1600
	ds_write_b128 v80, v[0:3] offset:3200
	ds_write_b128 v80, v[4:7] offset:4800
	v_add_f64 v[24:25], v[8:9], -v[32:33]
	v_add_f64 v[26:27], v[10:11], -v[34:35]
	;; [unrolled: 1-line block ×4, first 2 shown]
	v_fma_f64 v[4:5], v[8:9], 2.0, -v[24:25]
	v_add_f64 v[8:9], v[28:29], -v[36:37]
	v_fma_f64 v[6:7], v[10:11], 2.0, -v[26:27]
	v_add_f64 v[10:11], v[30:31], -v[38:39]
	v_fma_f64 v[0:1], v[28:29], 2.0, -v[8:9]
	buffer_load_dword v28, off, s[40:43], 0 offset:796 ; 4-byte Folded Reload
	v_fma_f64 v[2:3], v[30:31], 2.0, -v[10:11]
	v_add_f64 v[0:1], v[4:5], -v[0:1]
	v_add_f64 v[2:3], v[6:7], -v[2:3]
	v_fma_f64 v[4:5], v[4:5], 2.0, -v[0:1]
	v_fma_f64 v[6:7], v[6:7], 2.0, -v[2:3]
	s_waitcnt vmcnt(0)
	ds_write_b128 v28, v[4:7]
	v_add_f64 v[4:5], v[24:25], v[10:11]
	v_add_f64 v[6:7], v[26:27], -v[8:9]
	v_mov_b32_e32 v30, v28
	ds_write_b128 v28, v[0:3] offset:3200
	v_fma_f64 v[8:9], v[24:25], 2.0, -v[4:5]
	v_fma_f64 v[10:11], v[26:27], 2.0, -v[6:7]
	v_add_f64 v[24:25], v[12:13], -v[44:45]
	v_add_f64 v[26:27], v[14:15], -v[46:47]
	ds_write_b128 v30, v[4:7] offset:4800
	v_add_f64 v[6:7], v[16:17], -v[56:57]
	v_add_f64 v[30:31], v[54:55], -v[62:63]
	v_fma_f64 v[56:57], v[66:67], 2.0, -v[32:33]
	ds_write_b128 v28, v[8:11] offset:1600
	v_add_f64 v[28:29], v[42:43], -v[50:51]
	v_fma_f64 v[2:3], v[12:13], 2.0, -v[24:25]
	v_fma_f64 v[12:13], v[14:15], 2.0, -v[26:27]
	v_add_f64 v[14:15], v[40:41], -v[48:49]
	v_add_f64 v[48:49], v[20:21], -v[68:69]
	v_fma_f64 v[36:37], v[16:17], 2.0, -v[6:7]
	buffer_load_dword v106, off, s[40:43], 0 offset:328 ; 4-byte Folded Reload
	buffer_load_dword v107, off, s[40:43], 0 offset:332 ; 4-byte Folded Reload
	v_add_f64 v[50:51], v[22:23], -v[70:71]
	v_fma_f64 v[10:11], v[42:43], 2.0, -v[28:29]
	v_add_f64 v[42:43], v[18:19], -v[58:59]
	v_fma_f64 v[44:45], v[54:55], 2.0, -v[30:31]
	v_fma_f64 v[0:1], v[40:41], 2.0, -v[14:15]
	;; [unrolled: 1-line block ×3, first 2 shown]
	v_add_f64 v[14:15], v[26:27], -v[14:15]
	v_fma_f64 v[54:55], v[64:65], 2.0, -v[34:35]
	v_add_f64 v[32:33], v[48:49], v[32:33]
	v_add_f64 v[10:11], v[12:13], -v[10:11]
	v_fma_f64 v[38:39], v[18:19], 2.0, -v[42:43]
	v_add_f64 v[34:35], v[50:51], -v[34:35]
	v_add_f64 v[8:9], v[2:3], -v[0:1]
	v_fma_f64 v[18:19], v[26:27], 2.0, -v[14:15]
	v_fma_f64 v[48:49], v[48:49], 2.0, -v[32:33]
	;; [unrolled: 1-line block ×3, first 2 shown]
	v_add_f64 v[12:13], v[24:25], v[28:29]
	v_add_f64 v[28:29], v[52:53], -v[60:61]
	v_fma_f64 v[2:3], v[2:3], 2.0, -v[8:9]
	v_fma_f64 v[16:17], v[24:25], 2.0, -v[12:13]
	;; [unrolled: 1-line block ×3, first 2 shown]
	v_add_f64 v[24:25], v[6:7], v[30:31]
	v_fma_f64 v[52:53], v[22:23], 2.0, -v[50:51]
	v_add_f64 v[22:23], v[38:39], -v[44:45]
	v_add_f64 v[26:27], v[42:43], -v[28:29]
	;; [unrolled: 1-line block ×3, first 2 shown]
	v_fma_f64 v[50:51], v[50:51], 2.0, -v[34:35]
	v_add_f64 v[20:21], v[36:37], -v[40:41]
	v_fma_f64 v[40:41], v[6:7], 2.0, -v[24:25]
	buffer_load_dword v6, off, s[40:43], 0 offset:780 ; 4-byte Folded Reload
	s_waitcnt vmcnt(0)
	ds_write_b128 v6, v[2:5]
	ds_write_b128 v6, v[16:19] offset:1600
	ds_write_b128 v6, v[8:11] offset:3200
	;; [unrolled: 1-line block ×3, first 2 shown]
	buffer_load_dword v2, off, s[40:43], 0 offset:784 ; 4-byte Folded Reload
	v_fma_f64 v[36:37], v[36:37], 2.0, -v[20:21]
	v_fma_f64 v[38:39], v[38:39], 2.0, -v[22:23]
	;; [unrolled: 1-line block ×3, first 2 shown]
	s_waitcnt vmcnt(0)
	ds_write_b128 v2, v[36:39]
	ds_write_b128 v2, v[40:43] offset:1600
	ds_write_b128 v2, v[20:23] offset:3200
	;; [unrolled: 1-line block ×3, first 2 shown]
	buffer_load_dword v2, off, s[40:43], 0 offset:788 ; 4-byte Folded Reload
	v_add_f64 v[30:31], v[52:53], -v[56:57]
	v_fma_f64 v[44:45], v[46:47], 2.0, -v[28:29]
	v_mad_u64_u32 v[0:1], s[6:7], s2, v106, 0
	v_fma_f64 v[46:47], v[52:53], 2.0, -v[30:31]
	s_waitcnt vmcnt(0)
	ds_write_b128 v2, v[44:47]
	ds_write_b128 v2, v[48:51] offset:1600
	ds_write_b128 v2, v[28:31] offset:3200
	;; [unrolled: 1-line block ×3, first 2 shown]
	s_waitcnt lgkmcnt(0)
	s_barrier
	ds_read_b128 v[2:5], v114
	ds_read_b128 v[6:9], v114 offset:12800
	ds_read_b128 v[10:13], v114 offset:25600
	;; [unrolled: 1-line block ×9, first 2 shown]
	s_waitcnt lgkmcnt(6)
	v_mul_f64 v[54:55], v[214:215], v[16:17]
	v_mul_f64 v[56:57], v[214:215], v[14:15]
	s_waitcnt lgkmcnt(2)
	v_mul_f64 v[66:67], v[230:231], v[32:33]
	v_mul_f64 v[68:69], v[230:231], v[30:31]
	;; [unrolled: 1-line block ×8, first 2 shown]
	v_fma_f64 v[54:55], v[212:213], v[14:15], v[54:55]
	v_fma_f64 v[56:57], v[212:213], v[16:17], -v[56:57]
	v_mul_f64 v[62:63], v[234:235], v[28:29]
	v_mul_f64 v[64:65], v[234:235], v[26:27]
	ds_read_b128 v[14:17], v114 offset:20480
	ds_read_b128 v[42:45], v114 offset:30720
	v_fma_f64 v[66:67], v[228:229], v[30:31], v[66:67]
	v_fma_f64 v[68:69], v[228:229], v[32:33], -v[68:69]
	ds_read_b128 v[30:33], v114 offset:10240
	s_waitcnt lgkmcnt(2)
	v_mul_f64 v[82:83], v[250:251], v[16:17]
	v_mul_f64 v[84:85], v[250:251], v[14:15]
	v_fma_f64 v[46:47], v[216:217], v[6:7], v[46:47]
	v_fma_f64 v[48:49], v[216:217], v[8:9], -v[48:49]
	ds_read_b128 v[6:9], v114 offset:43520
	v_fma_f64 v[50:51], v[220:221], v[10:11], v[50:51]
	v_fma_f64 v[52:53], v[220:221], v[12:13], -v[52:53]
	ds_read_b128 v[10:13], v114 offset:7680
	;; [unrolled: 3-line block ×4, first 2 shown]
	v_mul_f64 v[70:71], v[246:247], v[40:41]
	v_mul_f64 v[72:73], v[246:247], v[38:39]
	s_waitcnt lgkmcnt(5)
	v_mul_f64 v[74:75], v[238:239], v[44:45]
	v_mul_f64 v[76:77], v[238:239], v[42:43]
	v_fma_f64 v[82:83], v[248:249], v[14:15], v[82:83]
	v_fma_f64 v[84:85], v[248:249], v[16:17], -v[84:85]
	s_waitcnt lgkmcnt(1)
	v_mul_f64 v[14:15], v[186:187], v[24:25]
	v_mul_f64 v[16:17], v[186:187], v[22:23]
	s_waitcnt lgkmcnt(0)
	v_mul_f64 v[86:87], v[182:183], v[28:29]
	v_mul_f64 v[88:89], v[182:183], v[26:27]
	v_fma_f64 v[70:71], v[244:245], v[38:39], v[70:71]
	v_fma_f64 v[72:73], v[244:245], v[40:41], -v[72:73]
	v_fma_f64 v[74:75], v[236:237], v[42:43], v[74:75]
	v_fma_f64 v[76:77], v[236:237], v[44:45], -v[76:77]
	ds_read_b128 v[38:41], v114 offset:23040
	ds_read_b128 v[42:45], v114 offset:35840
	v_add_f64 v[50:51], v[2:3], -v[50:51]
	v_add_f64 v[52:53], v[4:5], -v[52:53]
	;; [unrolled: 1-line block ×4, first 2 shown]
	v_mul_f64 v[78:79], v[242:243], v[8:9]
	v_mul_f64 v[80:81], v[242:243], v[6:7]
	v_fma_f64 v[90:91], v[184:185], v[22:23], v[14:15]
	v_fma_f64 v[92:93], v[184:185], v[24:25], -v[16:17]
	v_fma_f64 v[86:87], v[180:181], v[26:27], v[86:87]
	v_fma_f64 v[88:89], v[180:181], v[28:29], -v[88:89]
	s_waitcnt lgkmcnt(1)
	v_mul_f64 v[22:23], v[254:255], v[40:41]
	v_mul_f64 v[24:25], v[254:255], v[38:39]
	s_waitcnt lgkmcnt(0)
	v_mul_f64 v[26:27], v[178:179], v[44:45]
	v_mul_f64 v[28:29], v[178:179], v[42:43]
	v_fma_f64 v[14:15], v[2:3], 2.0, -v[50:51]
	v_fma_f64 v[16:17], v[4:5], 2.0, -v[52:53]
	;; [unrolled: 1-line block ×4, first 2 shown]
	v_fma_f64 v[78:79], v[240:241], v[6:7], v[78:79]
	v_fma_f64 v[80:81], v[240:241], v[8:9], -v[80:81]
	ds_read_b128 v[6:9], v114 offset:48640
	v_fma_f64 v[94:95], v[252:253], v[38:39], v[22:23]
	v_fma_f64 v[96:97], v[252:253], v[40:41], -v[24:25]
	v_fma_f64 v[98:99], v[176:177], v[42:43], v[26:27]
	v_fma_f64 v[100:101], v[176:177], v[44:45], -v[28:29]
	v_add_f64 v[42:43], v[18:19], -v[62:63]
	v_add_f64 v[44:45], v[20:21], -v[64:65]
	;; [unrolled: 1-line block ×4, first 2 shown]
	s_waitcnt lgkmcnt(0)
	v_mul_f64 v[46:47], v[174:175], v[8:9]
	v_mul_f64 v[48:49], v[174:175], v[6:7]
	v_add_f64 v[2:3], v[14:15], -v[2:3]
	v_add_f64 v[4:5], v[16:17], -v[4:5]
	v_fma_f64 v[38:39], v[18:19], 2.0, -v[42:43]
	v_fma_f64 v[40:41], v[20:21], 2.0, -v[44:45]
	;; [unrolled: 1-line block ×4, first 2 shown]
	v_fma_f64 v[102:103], v[172:173], v[6:7], v[46:47]
	v_fma_f64 v[104:105], v[172:173], v[8:9], -v[48:49]
	v_fma_f64 v[6:7], v[14:15], 2.0, -v[2:3]
	v_fma_f64 v[8:9], v[16:17], 2.0, -v[4:5]
	v_add_f64 v[62:63], v[34:35], -v[74:75]
	v_add_f64 v[64:65], v[36:37], -v[76:77]
	v_add_f64 v[14:15], v[50:51], v[56:57]
	v_add_f64 v[16:17], v[52:53], -v[54:55]
	v_add_f64 v[18:19], v[38:39], -v[18:19]
	;; [unrolled: 1-line block ×3, first 2 shown]
	v_add_f64 v[22:23], v[42:43], v[22:23]
	v_add_f64 v[24:25], v[44:45], -v[24:25]
	v_fma_f64 v[46:47], v[34:35], 2.0, -v[62:63]
	v_fma_f64 v[48:49], v[36:37], 2.0, -v[64:65]
	;; [unrolled: 1-line block ×8, first 2 shown]
	s_barrier
	ds_write_b128 v114, v[6:9]
	ds_write_b128 v114, v[34:37] offset:6400
	ds_write_b128 v114, v[2:5] offset:12800
	;; [unrolled: 1-line block ×7, first 2 shown]
	buffer_load_dword v2, off, s[40:43], 0 offset:800 ; 4-byte Folded Reload
	v_add_f64 v[66:67], v[70:71], -v[78:79]
	v_add_f64 v[68:69], v[72:73], -v[80:81]
	;; [unrolled: 1-line block ×6, first 2 shown]
	v_fma_f64 v[26:27], v[70:71], 2.0, -v[66:67]
	v_fma_f64 v[28:29], v[72:73], 2.0, -v[68:69]
	v_add_f64 v[70:71], v[10:11], -v[90:91]
	v_add_f64 v[72:73], v[12:13], -v[92:93]
	v_add_f64 v[50:51], v[62:63], v[68:69]
	v_add_f64 v[52:53], v[64:65], -v[66:67]
	v_add_f64 v[66:67], v[94:95], -v[102:103]
	v_add_f64 v[68:69], v[96:97], -v[104:105]
	v_fma_f64 v[58:59], v[82:83], 2.0, -v[56:57]
	v_fma_f64 v[60:61], v[84:85], 2.0, -v[54:55]
	;; [unrolled: 1-line block ×8, first 2 shown]
	v_add_f64 v[26:27], v[46:47], -v[26:27]
	v_add_f64 v[28:29], v[48:49], -v[28:29]
	;; [unrolled: 1-line block ×4, first 2 shown]
	v_add_f64 v[54:55], v[70:71], v[54:55]
	v_add_f64 v[56:57], v[72:73], -v[56:57]
	v_fma_f64 v[10:11], v[62:63], 2.0, -v[50:51]
	v_fma_f64 v[12:13], v[64:65], 2.0, -v[52:53]
	v_add_f64 v[58:59], v[82:83], -v[86:87]
	v_add_f64 v[60:61], v[84:85], -v[88:89]
	v_add_f64 v[62:63], v[78:79], v[68:69]
	v_add_f64 v[64:65], v[80:81], -v[66:67]
	v_fma_f64 v[46:47], v[46:47], 2.0, -v[26:27]
	v_fma_f64 v[48:49], v[48:49], 2.0, -v[28:29]
	;; [unrolled: 1-line block ×10, first 2 shown]
	s_waitcnt vmcnt(0)
	ds_write_b128 v2, v[46:49]
	ds_write_b128 v2, v[10:13] offset:6400
	ds_write_b128 v2, v[26:29] offset:12800
	;; [unrolled: 1-line block ×11, first 2 shown]
	s_waitcnt lgkmcnt(0)
	s_barrier
	ds_read_b128 v[2:5], v114
	ds_read_b128 v[6:9], v114 offset:25600
	ds_read_b128 v[10:13], v114 offset:2560
	;; [unrolled: 1-line block ×19, first 2 shown]
	s_waitcnt lgkmcnt(14)
	v_mul_f64 v[78:79], v[170:171], v[8:9]
	v_mul_f64 v[80:81], v[170:171], v[6:7]
	;; [unrolled: 1-line block ×6, first 2 shown]
	s_waitcnt lgkmcnt(12)
	v_mul_f64 v[95:96], v[153:154], v[32:33]
	v_mul_f64 v[97:98], v[153:154], v[30:31]
	v_fma_f64 v[6:7], v[168:169], v[6:7], v[78:79]
	v_fma_f64 v[8:9], v[168:169], v[8:9], -v[80:81]
	v_fma_f64 v[14:15], v[164:165], v[14:15], v[82:83]
	v_fma_f64 v[16:17], v[164:165], v[16:17], -v[84:85]
	s_waitcnt lgkmcnt(10)
	v_mul_f64 v[78:79], v[158:159], v[40:41]
	v_mul_f64 v[80:81], v[158:159], v[38:39]
	s_waitcnt lgkmcnt(8)
	v_mul_f64 v[82:83], v[149:150], v[48:49]
	v_mul_f64 v[84:85], v[149:150], v[46:47]
	v_fma_f64 v[22:23], v[160:161], v[22:23], v[86:87]
	v_fma_f64 v[24:25], v[160:161], v[24:25], -v[88:89]
	v_fma_f64 v[30:31], v[151:152], v[30:31], v[95:96]
	v_fma_f64 v[32:33], v[151:152], v[32:33], -v[97:98]
	s_waitcnt lgkmcnt(6)
	v_mul_f64 v[86:87], v[145:146], v[56:57]
	v_mul_f64 v[88:89], v[145:146], v[54:55]
	;; [unrolled: 10-line block ×3, first 2 shown]
	s_waitcnt lgkmcnt(0)
	v_mul_f64 v[82:83], v[123:124], v[93:94]
	v_mul_f64 v[84:85], v[123:124], v[91:92]
	v_fma_f64 v[54:55], v[143:144], v[54:55], v[86:87]
	v_fma_f64 v[56:57], v[143:144], v[56:57], -v[88:89]
	v_fma_f64 v[62:63], v[135:136], v[62:63], v[95:96]
	v_fma_f64 v[64:65], v[135:136], v[64:65], -v[97:98]
	v_add_f64 v[6:7], v[2:3], -v[6:7]
	v_add_f64 v[8:9], v[4:5], -v[8:9]
	v_fma_f64 v[70:71], v[139:140], v[70:71], v[78:79]
	v_fma_f64 v[72:73], v[139:140], v[72:73], -v[80:81]
	v_fma_f64 v[78:79], v[121:122], v[91:92], v[82:83]
	v_fma_f64 v[80:81], v[121:122], v[93:94], -v[84:85]
	v_add_f64 v[14:15], v[10:11], -v[14:15]
	v_add_f64 v[16:17], v[12:13], -v[16:17]
	v_add_f64 v[22:23], v[18:19], -v[22:23]
	v_add_f64 v[24:25], v[20:21], -v[24:25]
	v_add_f64 v[30:31], v[26:27], -v[30:31]
	v_add_f64 v[32:33], v[28:29], -v[32:33]
	v_fma_f64 v[2:3], v[2:3], 2.0, -v[6:7]
	v_fma_f64 v[4:5], v[4:5], 2.0, -v[8:9]
	v_add_f64 v[38:39], v[34:35], -v[38:39]
	v_add_f64 v[40:41], v[36:37], -v[40:41]
	;; [unrolled: 1-line block ×12, first 2 shown]
	v_fma_f64 v[10:11], v[10:11], 2.0, -v[14:15]
	v_fma_f64 v[12:13], v[12:13], 2.0, -v[16:17]
	;; [unrolled: 1-line block ×18, first 2 shown]
	ds_write_b128 v114, v[2:5]
	ds_write_b128 v114, v[6:9] offset:25600
	ds_write_b128 v114, v[10:13] offset:2560
	;; [unrolled: 1-line block ×19, first 2 shown]
	s_waitcnt lgkmcnt(0)
	s_barrier
	ds_read_b128 v[2:5], v114
	buffer_load_dword v11, off, s[40:43], 0 offset:56 ; 4-byte Folded Reload
	buffer_load_dword v12, off, s[40:43], 0 offset:60 ; 4-byte Folded Reload
	;; [unrolled: 1-line block ×4, first 2 shown]
	s_waitcnt lgkmcnt(0)
	v_mad_u64_u32 v[8:9], s[2:3], s3, v106, v[1:2]
	v_mov_b32_e32 v1, v8
	v_lshlrev_b64 v[0:1], 4, v[0:1]
	v_add_co_u32_e32 v24, vcc, s4, v0
	v_mov_b32_e32 v0, s5
	v_addc_co_u32_e32 v25, vcc, v0, v1, vcc
	s_mul_i32 s4, s1, 0x1400
	s_mul_hi_u32 s5, s0, 0x1400
	s_add_i32 s4, s5, s4
	s_mul_i32 s5, s0, 0x1400
	s_waitcnt vmcnt(0)
	v_mul_f64 v[6:7], v[13:14], v[4:5]
	v_mul_f64 v[9:10], v[13:14], v[2:3]
	buffer_load_dword v13, off, s[40:43], 0 offset:344 ; 4-byte Folded Reload
	v_fma_f64 v[6:7], v[11:12], v[2:3], v[6:7]
	v_mov_b32_e32 v2, v11
	v_mov_b32_e32 v3, v12
	v_fma_f64 v[8:9], v[2:3], v[4:5], -v[9:10]
	s_waitcnt vmcnt(0)
	v_mad_u64_u32 v[11:12], s[2:3], s0, v13, 0
	s_mov_b32 s2, 0x47ae147b
	s_mov_b32 s3, 0x3f347ae1
	v_mov_b32_e32 v2, v12
	v_mad_u64_u32 v[12:13], s[6:7], s1, v13, v[2:3]
	ds_read_b128 v[2:5], v114 offset:5120
	buffer_load_dword v17, off, s[40:43], 0 offset:40 ; 4-byte Folded Reload
	buffer_load_dword v18, off, s[40:43], 0 offset:44 ; 4-byte Folded Reload
	;; [unrolled: 1-line block ×4, first 2 shown]
	v_mul_f64 v[6:7], v[6:7], s[2:3]
	v_mul_f64 v[8:9], v[8:9], s[2:3]
	v_lshlrev_b64 v[0:1], 4, v[11:12]
	s_waitcnt vmcnt(0) lgkmcnt(0)
	v_mul_f64 v[13:14], v[19:20], v[4:5]
	v_mul_f64 v[15:16], v[19:20], v[2:3]
	v_fma_f64 v[10:11], v[17:18], v[2:3], v[13:14]
	v_add_co_u32_e32 v14, vcc, v24, v0
	v_fma_f64 v[12:13], v[17:18], v[4:5], -v[15:16]
	v_addc_co_u32_e32 v15, vcc, v25, v1, vcc
	global_store_dwordx4 v[14:15], v[6:9], off
	ds_read_b128 v[0:3], v114 offset:10240
	v_mul_f64 v[4:5], v[10:11], s[2:3]
	buffer_load_dword v8, off, s[40:43], 0 offset:312 ; 4-byte Folded Reload
	buffer_load_dword v9, off, s[40:43], 0 offset:316 ; 4-byte Folded Reload
	;; [unrolled: 1-line block ×4, first 2 shown]
	v_add_co_u32_e32 v14, vcc, s5, v14
	v_mul_f64 v[6:7], v[12:13], s[2:3]
	s_waitcnt vmcnt(0) lgkmcnt(0)
	v_mul_f64 v[12:13], v[10:11], v[2:3]
	v_mul_f64 v[16:17], v[10:11], v[0:1]
	v_mov_b32_e32 v19, v9
	v_mov_b32_e32 v18, v8
	ds_read_b128 v[8:11], v114 offset:15360
	v_fma_f64 v[0:1], v[18:19], v[0:1], v[12:13]
	v_fma_f64 v[2:3], v[18:19], v[2:3], -v[16:17]
	buffer_load_dword v19, off, s[40:43], 0 offset:296 ; 4-byte Folded Reload
	buffer_load_dword v20, off, s[40:43], 0 offset:300 ; 4-byte Folded Reload
	;; [unrolled: 1-line block ×4, first 2 shown]
	v_mov_b32_e32 v18, s4
	v_addc_co_u32_e32 v15, vcc, v15, v18, vcc
	global_store_dwordx4 v[14:15], v[4:7], off
	ds_read_b128 v[4:7], v114 offset:20480
	v_mul_f64 v[0:1], v[0:1], s[2:3]
	v_mul_f64 v[2:3], v[2:3], s[2:3]
	s_waitcnt vmcnt(1) lgkmcnt(1)
	v_mul_f64 v[12:13], v[21:22], v[10:11]
	v_mul_f64 v[16:17], v[21:22], v[8:9]
	v_fma_f64 v[8:9], v[19:20], v[8:9], v[12:13]
	v_add_co_u32_e32 v12, vcc, s5, v14
	v_mov_b32_e32 v13, s4
	v_addc_co_u32_e32 v13, vcc, v15, v13, vcc
	global_store_dwordx4 v[12:13], v[0:3], off
	v_fma_f64 v[10:11], v[19:20], v[10:11], -v[16:17]
	buffer_load_dword v19, off, s[40:43], 0 offset:280 ; 4-byte Folded Reload
	buffer_load_dword v20, off, s[40:43], 0 offset:284 ; 4-byte Folded Reload
	buffer_load_dword v21, off, s[40:43], 0 offset:288 ; 4-byte Folded Reload
	buffer_load_dword v22, off, s[40:43], 0 offset:292 ; 4-byte Folded Reload
	v_mul_f64 v[0:1], v[8:9], s[2:3]
	buffer_load_dword v18, off, s[40:43], 0 offset:20 ; 4-byte Folded Reload
	v_add_co_u32_e32 v12, vcc, s5, v12
	v_mul_f64 v[2:3], v[10:11], s[2:3]
	v_mov_b32_e32 v10, s4
	v_addc_co_u32_e32 v13, vcc, v13, v10, vcc
	s_waitcnt vmcnt(1) lgkmcnt(0)
	v_mul_f64 v[8:9], v[21:22], v[6:7]
	v_mul_f64 v[14:15], v[21:22], v[4:5]
	s_waitcnt vmcnt(0)
	v_mad_u64_u32 v[16:17], s[6:7], s0, v18, 0
	v_fma_f64 v[4:5], v[19:20], v[4:5], v[8:9]
	ds_read_b128 v[8:11], v114 offset:25600
	buffer_load_dword v26, off, s[40:43], 0 offset:264 ; 4-byte Folded Reload
	buffer_load_dword v27, off, s[40:43], 0 offset:268 ; 4-byte Folded Reload
	;; [unrolled: 1-line block ×4, first 2 shown]
	v_fma_f64 v[6:7], v[19:20], v[6:7], -v[14:15]
	v_mov_b32_e32 v14, v17
	v_mad_u64_u32 v[14:15], s[6:7], s1, v18, v[14:15]
	global_store_dwordx4 v[12:13], v[0:3], off
	v_mov_b32_e32 v17, v14
	v_mul_f64 v[0:1], v[4:5], s[2:3]
	v_mul_f64 v[2:3], v[6:7], s[2:3]
	ds_read_b128 v[4:7], v114 offset:30720
	v_lshlrev_b64 v[14:15], 4, v[16:17]
	v_add_co_u32_e32 v16, vcc, v24, v14
	v_addc_co_u32_e32 v17, vcc, v25, v15, vcc
	s_waitcnt vmcnt(1) lgkmcnt(1)
	v_mul_f64 v[18:19], v[28:29], v[10:11]
	v_mul_f64 v[20:21], v[28:29], v[8:9]
	v_fma_f64 v[8:9], v[26:27], v[8:9], v[18:19]
	v_fma_f64 v[10:11], v[26:27], v[10:11], -v[20:21]
	buffer_load_dword v26, off, s[40:43], 0 offset:248 ; 4-byte Folded Reload
	buffer_load_dword v27, off, s[40:43], 0 offset:252 ; 4-byte Folded Reload
	;; [unrolled: 1-line block ×4, first 2 shown]
	v_mul_f64 v[8:9], v[8:9], s[2:3]
	global_store_dwordx4 v[16:17], v[0:3], off
	v_mul_f64 v[10:11], v[10:11], s[2:3]
	s_waitcnt vmcnt(1) lgkmcnt(0)
	v_mul_f64 v[18:19], v[28:29], v[6:7]
	v_mul_f64 v[20:21], v[28:29], v[4:5]
	v_mov_b32_e32 v28, v27
	v_mov_b32_e32 v27, v26
	v_mov_b32_e32 v26, 0x2800
	v_mad_u64_u32 v[22:23], s[6:7], s0, v26, v[12:13]
	ds_read_b128 v[12:15], v114 offset:35840
	v_fma_f64 v[4:5], v[27:28], v[4:5], v[18:19]
	v_fma_f64 v[6:7], v[27:28], v[6:7], -v[20:21]
	buffer_load_dword v27, off, s[40:43], 0 offset:232 ; 4-byte Folded Reload
	buffer_load_dword v28, off, s[40:43], 0 offset:236 ; 4-byte Folded Reload
	;; [unrolled: 1-line block ×4, first 2 shown]
	v_add_u32_e32 v23, s8, v23
	global_store_dwordx4 v[22:23], v[8:11], off
	v_mul_f64 v[0:1], v[4:5], s[2:3]
	v_mul_f64 v[2:3], v[6:7], s[2:3]
	ds_read_b128 v[4:7], v114 offset:40960
	v_add_co_u32_e32 v8, vcc, s5, v22
	v_mov_b32_e32 v9, s4
	v_addc_co_u32_e32 v9, vcc, v23, v9, vcc
	s_waitcnt vmcnt(1) lgkmcnt(1)
	v_mul_f64 v[16:17], v[29:30], v[14:15]
	v_mul_f64 v[18:19], v[29:30], v[12:13]
	v_fma_f64 v[10:11], v[27:28], v[12:13], v[16:17]
	v_fma_f64 v[12:13], v[27:28], v[14:15], -v[18:19]
	buffer_load_dword v18, off, s[40:43], 0 offset:216 ; 4-byte Folded Reload
	buffer_load_dword v19, off, s[40:43], 0 offset:220 ; 4-byte Folded Reload
	;; [unrolled: 1-line block ×4, first 2 shown]
	s_waitcnt vmcnt(0) lgkmcnt(0)
	v_mul_f64 v[14:15], v[20:21], v[6:7]
	global_store_dwordx4 v[8:9], v[0:3], off
	v_mul_f64 v[16:17], v[20:21], v[4:5]
	v_mul_f64 v[0:1], v[10:11], s[2:3]
	;; [unrolled: 1-line block ×3, first 2 shown]
	v_add_co_u32_e32 v12, vcc, s5, v8
	v_mov_b32_e32 v8, s4
	v_addc_co_u32_e32 v13, vcc, v9, v8, vcc
	v_fma_f64 v[10:11], v[18:19], v[4:5], v[14:15]
	v_fma_f64 v[14:15], v[18:19], v[6:7], -v[16:17]
	global_store_dwordx4 v[12:13], v[0:3], off
	ds_read_b128 v[4:7], v114 offset:46080
	buffer_load_dword v9, off, s[40:43], 0 offset:16 ; 4-byte Folded Reload
	buffer_load_dword v0, off, s[40:43], 0 offset:200 ; 4-byte Folded Reload
	;; [unrolled: 1-line block ×5, first 2 shown]
	v_mad_u64_u32 v[12:13], s[6:7], s0, v26, v[12:13]
	v_add_u32_e32 v13, s8, v13
	s_waitcnt vmcnt(4)
	v_mad_u64_u32 v[16:17], s[6:7], s0, v9, 0
	s_waitcnt vmcnt(0) lgkmcnt(0)
	v_mul_f64 v[18:19], v[2:3], v[6:7]
	v_mul_f64 v[20:21], v[2:3], v[4:5]
	v_mov_b32_e32 v23, v1
	v_mov_b32_e32 v22, v0
	;; [unrolled: 1-line block ×3, first 2 shown]
	v_mul_f64 v[0:1], v[10:11], s[2:3]
	v_mul_f64 v[2:3], v[14:15], s[2:3]
	v_mad_u64_u32 v[14:15], s[6:7], s1, v9, v[8:9]
	ds_read_b128 v[8:11], v114 offset:2560
	v_fma_f64 v[4:5], v[22:23], v[4:5], v[18:19]
	v_fma_f64 v[6:7], v[22:23], v[6:7], -v[20:21]
	buffer_load_dword v20, off, s[40:43], 0 offset:168 ; 4-byte Folded Reload
	buffer_load_dword v21, off, s[40:43], 0 offset:172 ; 4-byte Folded Reload
	;; [unrolled: 1-line block ×4, first 2 shown]
	v_mov_b32_e32 v17, v14
	v_lshlrev_b64 v[14:15], 4, v[16:17]
	s_mul_i32 s1, s1, 0xffff5600
	v_add_co_u32_e32 v14, vcc, v24, v14
	v_addc_co_u32_e32 v15, vcc, v25, v15, vcc
	global_store_dwordx4 v[14:15], v[0:3], off
	v_mul_f64 v[4:5], v[4:5], s[2:3]
	v_mul_f64 v[6:7], v[6:7], s[2:3]
	s_waitcnt vmcnt(1) lgkmcnt(0)
	v_mul_f64 v[16:17], v[22:23], v[10:11]
	v_mul_f64 v[18:19], v[22:23], v[8:9]
	v_fma_f64 v[16:17], v[20:21], v[8:9], v[16:17]
	v_fma_f64 v[18:19], v[20:21], v[10:11], -v[18:19]
	ds_read_b128 v[8:11], v114 offset:7680
	buffer_load_dword v0, off, s[40:43], 0 offset:136 ; 4-byte Folded Reload
	buffer_load_dword v1, off, s[40:43], 0 offset:140 ; 4-byte Folded Reload
	;; [unrolled: 1-line block ×4, first 2 shown]
	s_waitcnt vmcnt(0) lgkmcnt(0)
	v_mul_f64 v[20:21], v[2:3], v[8:9]
	v_mov_b32_e32 v23, v1
	v_mov_b32_e32 v22, v0
	global_store_dwordx4 v[12:13], v[4:7], off
	v_mul_f64 v[14:15], v[2:3], v[10:11]
	v_mov_b32_e32 v4, 0xffff5600
	v_mul_f64 v[2:3], v[18:19], s[2:3]
	v_mad_u64_u32 v[12:13], s[6:7], s0, v4, v[12:13]
	ds_read_b128 v[4:7], v114 offset:12800
	v_fma_f64 v[10:11], v[22:23], v[10:11], -v[20:21]
	buffer_load_dword v18, off, s[40:43], 0 offset:120 ; 4-byte Folded Reload
	buffer_load_dword v19, off, s[40:43], 0 offset:124 ; 4-byte Folded Reload
	;; [unrolled: 1-line block ×4, first 2 shown]
	v_mul_f64 v[0:1], v[16:17], s[2:3]
	v_fma_f64 v[8:9], v[22:23], v[8:9], v[14:15]
	s_sub_i32 s0, s1, s0
	v_add_u32_e32 v13, s0, v13
	global_store_dwordx4 v[12:13], v[0:3], off
	s_nop 0
	v_mul_f64 v[0:1], v[8:9], s[2:3]
	v_mul_f64 v[2:3], v[10:11], s[2:3]
	ds_read_b128 v[8:11], v114 offset:17920
	v_add_co_u32_e32 v12, vcc, s5, v12
	s_waitcnt vmcnt(1) lgkmcnt(1)
	v_mul_f64 v[14:15], v[20:21], v[6:7]
	v_mul_f64 v[16:17], v[20:21], v[4:5]
	v_fma_f64 v[4:5], v[18:19], v[4:5], v[14:15]
	v_fma_f64 v[6:7], v[18:19], v[6:7], -v[16:17]
	buffer_load_dword v18, off, s[40:43], 0 offset:104 ; 4-byte Folded Reload
	buffer_load_dword v19, off, s[40:43], 0 offset:108 ; 4-byte Folded Reload
	buffer_load_dword v20, off, s[40:43], 0 offset:112 ; 4-byte Folded Reload
	buffer_load_dword v21, off, s[40:43], 0 offset:116 ; 4-byte Folded Reload
	v_mov_b32_e32 v14, s4
	v_addc_co_u32_e32 v13, vcc, v13, v14, vcc
	global_store_dwordx4 v[12:13], v[0:3], off
	v_add_co_u32_e32 v12, vcc, s5, v12
	v_mul_f64 v[0:1], v[4:5], s[2:3]
	v_mul_f64 v[2:3], v[6:7], s[2:3]
	ds_read_b128 v[4:7], v114 offset:23040
	s_waitcnt vmcnt(1) lgkmcnt(1)
	v_mul_f64 v[14:15], v[20:21], v[10:11]
	v_mul_f64 v[16:17], v[20:21], v[8:9]
	v_fma_f64 v[8:9], v[18:19], v[8:9], v[14:15]
	v_fma_f64 v[10:11], v[18:19], v[10:11], -v[16:17]
	buffer_load_dword v18, off, s[40:43], 0 offset:88 ; 4-byte Folded Reload
	buffer_load_dword v19, off, s[40:43], 0 offset:92 ; 4-byte Folded Reload
	buffer_load_dword v20, off, s[40:43], 0 offset:96 ; 4-byte Folded Reload
	buffer_load_dword v21, off, s[40:43], 0 offset:100 ; 4-byte Folded Reload
	v_mov_b32_e32 v16, s4
	v_addc_co_u32_e32 v13, vcc, v13, v16, vcc
	global_store_dwordx4 v[12:13], v[0:3], off
	v_add_co_u32_e32 v12, vcc, s5, v12
	v_mul_f64 v[0:1], v[8:9], s[2:3]
	v_mul_f64 v[2:3], v[10:11], s[2:3]
	ds_read_b128 v[8:11], v114 offset:28160
	;; [unrolled: 16-line block ×4, first 2 shown]
	v_mov_b32_e32 v12, s4
	s_waitcnt vmcnt(1) lgkmcnt(1)
	v_mul_f64 v[14:15], v[21:22], v[6:7]
	v_mul_f64 v[16:17], v[21:22], v[4:5]
	buffer_load_dword v22, off, s[40:43], 0 offset:152 ; 4-byte Folded Reload
	buffer_load_dword v23, off, s[40:43], 0 offset:156 ; 4-byte Folded Reload
	;; [unrolled: 1-line block ×4, first 2 shown]
	v_fma_f64 v[4:5], v[19:20], v[4:5], v[14:15]
	v_fma_f64 v[6:7], v[19:20], v[6:7], -v[16:17]
	v_addc_co_u32_e32 v19, vcc, v13, v12, vcc
	global_store_dwordx4 v[18:19], v[0:3], off
	ds_read_b128 v[0:3], v114 offset:43520
	v_mul_f64 v[12:13], v[4:5], s[2:3]
	v_mul_f64 v[14:15], v[6:7], s[2:3]
	v_add_co_u32_e32 v4, vcc, s5, v18
	v_mov_b32_e32 v5, s4
	v_addc_co_u32_e32 v5, vcc, v19, v5, vcc
	global_store_dwordx4 v[4:5], v[12:15], off
	s_waitcnt vmcnt(2) lgkmcnt(1)
	v_mul_f64 v[16:17], v[24:25], v[10:11]
	v_mul_f64 v[20:21], v[24:25], v[8:9]
	v_fma_f64 v[6:7], v[22:23], v[8:9], v[16:17]
	v_fma_f64 v[8:9], v[22:23], v[10:11], -v[20:21]
	ds_read_b128 v[10:13], v114 offset:48640
	buffer_load_dword v18, off, s[40:43], 0 offset:24 ; 4-byte Folded Reload
	buffer_load_dword v19, off, s[40:43], 0 offset:28 ; 4-byte Folded Reload
	;; [unrolled: 1-line block ×4, first 2 shown]
	buffer_load_dword v25, off, s[40:43], 0 ; 4-byte Folded Reload
	buffer_load_dword v26, off, s[40:43], 0 offset:4 ; 4-byte Folded Reload
	buffer_load_dword v27, off, s[40:43], 0 offset:8 ; 4-byte Folded Reload
	;; [unrolled: 1-line block ×3, first 2 shown]
	v_add_co_u32_e32 v22, vcc, s5, v4
	v_mov_b32_e32 v4, s4
	v_mul_f64 v[6:7], v[6:7], s[2:3]
	v_mul_f64 v[8:9], v[8:9], s[2:3]
	s_waitcnt vmcnt(4) lgkmcnt(1)
	v_mul_f64 v[14:15], v[20:21], v[2:3]
	v_mul_f64 v[16:17], v[20:21], v[0:1]
	v_mov_b32_e32 v24, v19
	v_mov_b32_e32 v23, v18
	s_waitcnt vmcnt(0) lgkmcnt(0)
	v_mul_f64 v[18:19], v[27:28], v[12:13]
	v_mul_f64 v[20:21], v[27:28], v[10:11]
	v_fma_f64 v[0:1], v[23:24], v[0:1], v[14:15]
	v_fma_f64 v[2:3], v[23:24], v[2:3], -v[16:17]
	v_addc_co_u32_e32 v23, vcc, v5, v4, vcc
	v_fma_f64 v[4:5], v[25:26], v[10:11], v[18:19]
	v_fma_f64 v[10:11], v[25:26], v[12:13], -v[20:21]
	global_store_dwordx4 v[22:23], v[6:9], off
	v_mul_f64 v[0:1], v[0:1], s[2:3]
	v_mul_f64 v[2:3], v[2:3], s[2:3]
	v_add_co_u32_e32 v8, vcc, s5, v22
	v_mul_f64 v[4:5], v[4:5], s[2:3]
	v_mul_f64 v[6:7], v[10:11], s[2:3]
	v_mov_b32_e32 v9, s4
	v_addc_co_u32_e32 v9, vcc, v23, v9, vcc
	global_store_dwordx4 v[8:9], v[0:3], off
	s_nop 0
	v_add_co_u32_e32 v0, vcc, s5, v8
	v_mov_b32_e32 v1, s4
	v_addc_co_u32_e32 v1, vcc, v9, v1, vcc
	global_store_dwordx4 v[0:1], v[4:7], off
.LBB0_2:
	s_endpgm
	.section	.rodata,"a",@progbits
	.p2align	6, 0x0
	.amdhsa_kernel bluestein_single_back_len3200_dim1_dp_op_CI_CI
		.amdhsa_group_segment_fixed_size 51200
		.amdhsa_private_segment_fixed_size 808
		.amdhsa_kernarg_size 104
		.amdhsa_user_sgpr_count 6
		.amdhsa_user_sgpr_private_segment_buffer 1
		.amdhsa_user_sgpr_dispatch_ptr 0
		.amdhsa_user_sgpr_queue_ptr 0
		.amdhsa_user_sgpr_kernarg_segment_ptr 1
		.amdhsa_user_sgpr_dispatch_id 0
		.amdhsa_user_sgpr_flat_scratch_init 0
		.amdhsa_user_sgpr_private_segment_size 0
		.amdhsa_uses_dynamic_stack 0
		.amdhsa_system_sgpr_private_segment_wavefront_offset 1
		.amdhsa_system_sgpr_workgroup_id_x 1
		.amdhsa_system_sgpr_workgroup_id_y 0
		.amdhsa_system_sgpr_workgroup_id_z 0
		.amdhsa_system_sgpr_workgroup_info 0
		.amdhsa_system_vgpr_workitem_id 0
		.amdhsa_next_free_vgpr 256
		.amdhsa_next_free_sgpr 44
		.amdhsa_reserve_vcc 1
		.amdhsa_reserve_flat_scratch 0
		.amdhsa_float_round_mode_32 0
		.amdhsa_float_round_mode_16_64 0
		.amdhsa_float_denorm_mode_32 3
		.amdhsa_float_denorm_mode_16_64 3
		.amdhsa_dx10_clamp 1
		.amdhsa_ieee_mode 1
		.amdhsa_fp16_overflow 0
		.amdhsa_exception_fp_ieee_invalid_op 0
		.amdhsa_exception_fp_denorm_src 0
		.amdhsa_exception_fp_ieee_div_zero 0
		.amdhsa_exception_fp_ieee_overflow 0
		.amdhsa_exception_fp_ieee_underflow 0
		.amdhsa_exception_fp_ieee_inexact 0
		.amdhsa_exception_int_div_zero 0
	.end_amdhsa_kernel
	.text
.Lfunc_end0:
	.size	bluestein_single_back_len3200_dim1_dp_op_CI_CI, .Lfunc_end0-bluestein_single_back_len3200_dim1_dp_op_CI_CI
                                        ; -- End function
	.section	.AMDGPU.csdata,"",@progbits
; Kernel info:
; codeLenInByte = 30260
; NumSgprs: 48
; NumVgprs: 256
; ScratchSize: 808
; MemoryBound: 0
; FloatMode: 240
; IeeeMode: 1
; LDSByteSize: 51200 bytes/workgroup (compile time only)
; SGPRBlocks: 5
; VGPRBlocks: 63
; NumSGPRsForWavesPerEU: 48
; NumVGPRsForWavesPerEU: 256
; Occupancy: 1
; WaveLimiterHint : 1
; COMPUTE_PGM_RSRC2:SCRATCH_EN: 1
; COMPUTE_PGM_RSRC2:USER_SGPR: 6
; COMPUTE_PGM_RSRC2:TRAP_HANDLER: 0
; COMPUTE_PGM_RSRC2:TGID_X_EN: 1
; COMPUTE_PGM_RSRC2:TGID_Y_EN: 0
; COMPUTE_PGM_RSRC2:TGID_Z_EN: 0
; COMPUTE_PGM_RSRC2:TIDIG_COMP_CNT: 0
	.type	__hip_cuid_fa7de05d2b7baa5,@object ; @__hip_cuid_fa7de05d2b7baa5
	.section	.bss,"aw",@nobits
	.globl	__hip_cuid_fa7de05d2b7baa5
__hip_cuid_fa7de05d2b7baa5:
	.byte	0                               ; 0x0
	.size	__hip_cuid_fa7de05d2b7baa5, 1

	.ident	"AMD clang version 19.0.0git (https://github.com/RadeonOpenCompute/llvm-project roc-6.4.0 25133 c7fe45cf4b819c5991fe208aaa96edf142730f1d)"
	.section	".note.GNU-stack","",@progbits
	.addrsig
	.addrsig_sym __hip_cuid_fa7de05d2b7baa5
	.amdgpu_metadata
---
amdhsa.kernels:
  - .args:
      - .actual_access:  read_only
        .address_space:  global
        .offset:         0
        .size:           8
        .value_kind:     global_buffer
      - .actual_access:  read_only
        .address_space:  global
        .offset:         8
        .size:           8
        .value_kind:     global_buffer
      - .actual_access:  read_only
        .address_space:  global
        .offset:         16
        .size:           8
        .value_kind:     global_buffer
      - .actual_access:  read_only
        .address_space:  global
        .offset:         24
        .size:           8
        .value_kind:     global_buffer
      - .actual_access:  read_only
        .address_space:  global
        .offset:         32
        .size:           8
        .value_kind:     global_buffer
      - .offset:         40
        .size:           8
        .value_kind:     by_value
      - .address_space:  global
        .offset:         48
        .size:           8
        .value_kind:     global_buffer
      - .address_space:  global
        .offset:         56
        .size:           8
        .value_kind:     global_buffer
      - .address_space:  global
        .offset:         64
        .size:           8
        .value_kind:     global_buffer
      - .address_space:  global
        .offset:         72
        .size:           8
        .value_kind:     global_buffer
      - .offset:         80
        .size:           4
        .value_kind:     by_value
      - .address_space:  global
        .offset:         88
        .size:           8
        .value_kind:     global_buffer
      - .address_space:  global
        .offset:         96
        .size:           8
        .value_kind:     global_buffer
    .group_segment_fixed_size: 51200
    .kernarg_segment_align: 8
    .kernarg_segment_size: 104
    .language:       OpenCL C
    .language_version:
      - 2
      - 0
    .max_flat_workgroup_size: 160
    .name:           bluestein_single_back_len3200_dim1_dp_op_CI_CI
    .private_segment_fixed_size: 808
    .sgpr_count:     48
    .sgpr_spill_count: 0
    .symbol:         bluestein_single_back_len3200_dim1_dp_op_CI_CI.kd
    .uniform_work_group_size: 1
    .uses_dynamic_stack: false
    .vgpr_count:     256
    .vgpr_spill_count: 201
    .wavefront_size: 64
amdhsa.target:   amdgcn-amd-amdhsa--gfx906
amdhsa.version:
  - 1
  - 2
...

	.end_amdgpu_metadata
